;; amdgpu-corpus repo=ROCm/rocFFT kind=compiled arch=gfx950 opt=O3
	.text
	.amdgcn_target "amdgcn-amd-amdhsa--gfx950"
	.amdhsa_code_object_version 6
	.protected	bluestein_single_fwd_len1512_dim1_sp_op_CI_CI ; -- Begin function bluestein_single_fwd_len1512_dim1_sp_op_CI_CI
	.globl	bluestein_single_fwd_len1512_dim1_sp_op_CI_CI
	.p2align	8
	.type	bluestein_single_fwd_len1512_dim1_sp_op_CI_CI,@function
bluestein_single_fwd_len1512_dim1_sp_op_CI_CI: ; @bluestein_single_fwd_len1512_dim1_sp_op_CI_CI
; %bb.0:
	s_load_dwordx4 s[12:15], s[0:1], 0x28
	v_mul_u32_u24_e32 v1, 0x411, v0
	v_add_u32_sdwa v164, s2, v1 dst_sel:DWORD dst_unused:UNUSED_PAD src0_sel:DWORD src1_sel:WORD_1
	v_mov_b32_e32 v165, 0
	s_waitcnt lgkmcnt(0)
	v_cmp_gt_u64_e32 vcc, s[12:13], v[164:165]
	s_and_saveexec_b64 s[2:3], vcc
	s_cbranch_execz .LBB0_10
; %bb.1:
	s_load_dwordx4 s[4:7], s[0:1], 0x18
	s_load_dwordx4 s[8:11], s[0:1], 0x0
	v_mov_b32_e32 v2, s14
	v_mov_b32_e32 v3, s15
	;; [unrolled: 1-line block ×3, first 2 shown]
	s_waitcnt lgkmcnt(0)
	s_load_dwordx4 s[12:15], s[4:5], 0x0
	v_mul_lo_u16_sdwa v1, v1, v4 dst_sel:DWORD dst_unused:UNUSED_PAD src0_sel:WORD_1 src1_sel:DWORD
	v_sub_u16_e32 v204, v0, v1
	v_mov_b32_e32 v35, 0x17a0
	v_lshlrev_b32_e32 v184, 3, v204
	s_waitcnt lgkmcnt(0)
	v_mad_u64_u32 v[0:1], s[2:3], s14, v164, 0
	v_mov_b32_e32 v4, v1
	v_mad_u64_u32 v[4:5], s[2:3], s15, v164, v[4:5]
	v_mov_b32_e32 v1, v4
	v_mad_u64_u32 v[4:5], s[2:3], s12, v204, 0
	v_mov_b32_e32 v6, v5
	v_mad_u64_u32 v[6:7], s[2:3], s13, v204, v[6:7]
	v_mov_b32_e32 v5, v6
	v_lshl_add_u64 v[0:1], v[0:1], 3, v[2:3]
	v_lshl_add_u64 v[4:5], v[4:5], 3, v[0:1]
	v_mov_b32_e32 v185, v165
	v_mad_u64_u32 v[8:9], s[2:3], s12, v35, v[4:5]
	v_lshl_add_u64 v[0:1], s[8:9], 0, v[184:185]
	s_mul_i32 s2, s13, 0x17a0
	s_movk_i32 s3, 0x1000
	v_add_u32_e32 v9, s2, v9
	v_add_co_u32_e32 v6, vcc, s3, v0
	v_mov_b32_e32 v36, 0xffffea58
	s_mul_i32 s3, s13, 0xffffea58
	global_load_dwordx2 v[2:3], v[4:5], off
	s_sub_i32 s3, s3, s12
	global_load_dwordx2 v[4:5], v[8:9], off
	v_mad_u64_u32 v[8:9], s[4:5], s12, v36, v[8:9]
	v_add_u32_e32 v9, s3, v9
	v_mad_u64_u32 v[10:11], s[4:5], s12, v35, v[8:9]
	v_addc_co_u32_e32 v7, vcc, 0, v1, vcc
	global_load_dwordx2 v[48:49], v184, s[8:9]
	global_load_dwordx2 v[32:33], v184, s[8:9] offset:504
	v_add_u32_e32 v11, s2, v11
	global_load_dwordx2 v[38:39], v[6:7], off offset:1952
	global_load_dwordx2 v[30:31], v[6:7], off offset:2456
	v_mad_u64_u32 v[14:15], s[4:5], s12, v36, v[10:11]
	v_add_u32_e32 v15, s3, v15
	global_load_dwordx2 v[8:9], v[8:9], off
	s_mov_b32 s13, 0
	global_load_dwordx2 v[10:11], v[10:11], off
	s_nop 0
	global_load_dwordx2 v[12:13], v[14:15], off
	global_load_dwordx2 v[28:29], v184, s[8:9] offset:1008
	v_mad_u64_u32 v[14:15], s[4:5], s12, v35, v[14:15]
	v_add_u32_e32 v15, s2, v15
	global_load_dwordx2 v[16:17], v[14:15], off
	global_load_dwordx2 v[26:27], v[6:7], off offset:2960
	v_mad_u64_u32 v[14:15], s[4:5], s12, v36, v[14:15]
	v_add_u32_e32 v15, s3, v15
	global_load_dwordx2 v[18:19], v[14:15], off
	global_load_dwordx2 v[24:25], v184, s[8:9] offset:1512
	v_mad_u64_u32 v[20:21], s[4:5], s12, v35, v[14:15]
	v_add_u32_e32 v21, s2, v21
	global_load_dwordx2 v[14:15], v[20:21], off
	global_load_dwordx2 v[22:23], v[6:7], off offset:3464
	s_mov_b64 s[4:5], 0x7e
	v_mov_b32_e32 v205, s13
	v_lshl_add_u64 v[84:85], v[204:205], 0, s[4:5]
	s_load_dwordx4 s[4:7], s[6:7], 0x0
	global_load_dwordx2 v[46:47], v[6:7], off offset:3968
	global_load_dwordx2 v[44:45], v[6:7], off offset:440
	;; [unrolled: 1-line block ×4, first 2 shown]
	v_add_u32_e32 v120, 0x1800, v184
	s_mov_b64 s[14:15], 0xbd
	v_lshl_add_u64 v[112:113], v[204:205], 0, s[14:15]
	s_movk_i32 s13, 0x2000
	v_add_co_u32_e32 v0, vcc, s13, v0
	v_add_u32_e32 v126, 0x400, v184
	s_nop 0
	v_addc_co_u32_e32 v1, vcc, 0, v1, vcc
	v_add_u32_e32 v113, 0x2000, v184
	v_add_u32_e32 v121, 0x800, v184
	;; [unrolled: 1-line block ×8, first 2 shown]
	v_lshl_add_u64 v[64:65], v[204:205], 0, 63
	v_lshlrev_b32_e32 v168, 4, v204
	v_add_u32_e32 v83, 0x237, v204
	v_add_u32_e32 v185, 0x2b5, v204
	v_and_b32_e32 v133, 7, v84
	v_and_b32_e32 v132, 7, v112
	v_accvgpr_write_b32 a71, v83
	v_cmp_gt_u16_e32 vcc, 9, v204
	v_accvgpr_write_b32 a16, v164
	v_accvgpr_write_b32 a147, v168
	s_waitcnt vmcnt(17)
	v_mul_f32_e32 v6, v3, v49
	v_mul_f32_e32 v7, v2, v49
	v_fmac_f32_e32 v6, v2, v48
	v_fma_f32 v7, v3, v48, -v7
	s_waitcnt vmcnt(15)
	v_mul_f32_e32 v2, v5, v39
	v_mul_f32_e32 v3, v4, v39
	v_fmac_f32_e32 v2, v4, v38
	v_fma_f32 v3, v5, v38, -v3
	ds_write_b64 v184, v[2:3] offset:6048
	s_waitcnt vmcnt(13)
	v_mul_f32_e32 v2, v9, v33
	v_mul_f32_e32 v3, v8, v33
	v_fmac_f32_e32 v2, v8, v32
	v_fma_f32 v3, v9, v32, -v3
	ds_write2_b64 v184, v[6:7], v[2:3] offset1:63
	s_waitcnt vmcnt(12)
	v_mul_f32_e32 v2, v11, v31
	v_mul_f32_e32 v3, v10, v31
	s_waitcnt vmcnt(8)
	v_mul_f32_e32 v6, v17, v27
	v_mul_f32_e32 v7, v16, v27
	v_fmac_f32_e32 v2, v10, v30
	v_fma_f32 v3, v11, v30, -v3
	v_fmac_f32_e32 v6, v16, v26
	v_fma_f32 v7, v17, v26, -v7
	ds_write2_b64 v120, v[2:3], v[6:7] offset0:51 offset1:114
	v_mad_u64_u32 v[2:3], s[14:15], s12, v36, v[20:21]
	v_add_u32_e32 v3, s3, v3
	v_mul_f32_e32 v4, v13, v29
	v_mul_f32_e32 v5, v12, v29
	global_load_dwordx2 v[6:7], v[2:3], off
	global_load_dwordx2 v[66:67], v184, s[8:9] offset:2016
	s_waitcnt vmcnt(8)
	v_mul_f32_e32 v8, v19, v25
	v_mul_f32_e32 v9, v18, v25
	v_mad_u64_u32 v[2:3], s[14:15], s12, v35, v[2:3]
	v_fmac_f32_e32 v4, v12, v28
	v_fma_f32 v5, v13, v28, -v5
	v_fmac_f32_e32 v8, v18, v24
	v_fma_f32 v9, v19, v24, -v9
	v_add_u32_e32 v3, s2, v3
	ds_write2_b64 v184, v[4:5], v[8:9] offset0:126 offset1:189
	global_load_dwordx2 v[8:9], v[2:3], off
	v_mad_u64_u32 v[2:3], s[14:15], s12, v36, v[2:3]
	v_add_u32_e32 v3, s3, v3
	global_load_dwordx2 v[10:11], v[2:3], off
	global_load_dwordx2 v[74:75], v184, s[8:9] offset:2520
	v_mad_u64_u32 v[2:3], s[14:15], s12, v35, v[2:3]
	v_add_u32_e32 v3, s2, v3
	global_load_dwordx2 v[12:13], v[2:3], off
	v_mad_u64_u32 v[2:3], s[14:15], s12, v36, v[2:3]
	s_waitcnt vmcnt(10)
	v_mul_f32_e32 v4, v15, v23
	v_mul_f32_e32 v5, v14, v23
	v_add_u32_e32 v3, s3, v3
	v_fmac_f32_e32 v4, v14, v22
	global_load_dwordx2 v[70:71], v[0:1], off offset:376
	v_fma_f32 v5, v15, v22, -v5
	global_load_dwordx2 v[14:15], v[2:3], off
	global_load_dwordx2 v[72:73], v184, s[8:9] offset:3024
	v_mad_u64_u32 v[2:3], s[14:15], s12, v35, v[2:3]
	v_add_u32_e32 v3, s2, v3
	global_load_dwordx2 v[16:17], v[2:3], off
	global_load_dwordx2 v[62:63], v[0:1], off offset:880
	v_mad_u64_u32 v[2:3], s[16:17], s12, v36, v[2:3]
	v_add_u32_e32 v3, s3, v3
	global_load_dwordx2 v[18:19], v[2:3], off
	global_load_dwordx2 v[60:61], v184, s[8:9] offset:3528
	v_mad_u64_u32 v[2:3], s[16:17], s12, v35, v[2:3]
	v_add_u32_e32 v3, s2, v3
	global_load_dwordx2 v[20:21], v[2:3], off
	v_mad_u64_u32 v[2:3], s[16:17], s12, v36, v[2:3]
	v_accvgpr_write_b32 a8, v22
	v_add_u32_e32 v3, s3, v3
	v_accvgpr_write_b32 a9, v23
	global_load_dwordx2 v[58:59], v[0:1], off offset:1384
	global_load_dwordx2 v[22:23], v[2:3], off
	global_load_dwordx2 v[56:57], v184, s[8:9] offset:4032
	v_mad_u64_u32 v[2:3], s[16:17], s12, v35, v[2:3]
	v_accvgpr_write_b32 a10, v24
	s_mov_b64 s[14:15], 0xfc
	v_add_u32_e32 v3, s2, v3
	v_accvgpr_write_b32 a11, v25
	global_load_dwordx2 v[24:25], v[2:3], off
	global_load_dwordx2 v[54:55], v[0:1], off offset:1888
	v_lshl_add_u64 v[68:69], v[204:205], 0, s[14:15]
	v_mad_u64_u32 v[2:3], s[14:15], s12, v36, v[2:3]
	v_accvgpr_write_b32 a12, v26
	v_add_u32_e32 v3, s3, v3
	v_accvgpr_write_b32 a13, v27
	global_load_dwordx2 v[26:27], v[2:3], off
	v_mad_u64_u32 v[2:3], s[14:15], s12, v35, v[2:3]
	v_accvgpr_write_b32 a18, v28
	v_add_u32_e32 v3, s2, v3
	v_accvgpr_write_b32 a19, v29
	global_load_dwordx2 v[28:29], v[2:3], off
	global_load_dwordx2 v[52:53], v[0:1], off offset:2392
	v_mad_u64_u32 v[2:3], s[14:15], s12, v36, v[2:3]
	v_accvgpr_write_b32 a22, v30
	v_add_u32_e32 v3, s3, v3
	v_accvgpr_write_b32 a23, v31
	global_load_dwordx2 v[30:31], v[2:3], off
	v_mad_u64_u32 v[2:3], s[14:15], s12, v35, v[2:3]
	v_accvgpr_write_b32 a24, v32
	v_add_u32_e32 v3, s2, v3
	v_accvgpr_write_b32 a25, v33
	global_load_dwordx2 v[32:33], v[2:3], off
	global_load_dwordx2 v[50:51], v[0:1], off offset:2896
	v_mad_u64_u32 v[2:3], s[14:15], s12, v36, v[2:3]
	v_add_u32_e32 v3, s3, v3
	global_load_dwordx2 v[36:37], v[2:3], off
	v_mad_u64_u32 v[2:3], s[12:13], s12, v35, v[2:3]
	v_accvgpr_write_b32 a30, v48
	v_accvgpr_write_b32 a26, v38
	v_add_u32_e32 v3, s2, v3
	v_accvgpr_write_b32 a31, v49
	v_accvgpr_write_b32 a27, v39
	global_load_dwordx2 v[38:39], v[2:3], off
	global_load_dwordx2 v[48:49], v[0:1], off offset:3400
	s_waitcnt vmcnt(25)
	v_mul_f32_e32 v0, v9, v47
	v_mul_f32_e32 v1, v8, v47
	;; [unrolled: 1-line block ×3, first 2 shown]
	v_fmac_f32_e32 v0, v8, v46
	v_fma_f32 v1, v9, v46, -v1
	v_fmac_f32_e32 v34, v6, v66
	v_mul_f32_e32 v6, v6, v67
	ds_write2_b64 v120, v[4:5], v[0:1] offset0:177 offset1:240
	s_waitcnt vmcnt(23)
	v_mul_f32_e32 v0, v11, v75
	v_mul_f32_e32 v1, v10, v75
	v_fma_f32 v35, v7, v66, -v6
	v_fmac_f32_e32 v0, v10, v74
	v_fma_f32 v1, v11, v74, -v1
	ds_write2_b64 v126, v[34:35], v[0:1] offset0:124 offset1:187
	s_waitcnt vmcnt(21)
	v_mul_f32_e32 v0, v13, v71
	v_mul_f32_e32 v1, v12, v71
	v_fmac_f32_e32 v0, v12, v70
	v_fma_f32 v1, v13, v70, -v1
	s_waitcnt vmcnt(19)
	v_mul_f32_e32 v2, v15, v73
	v_mul_f32_e32 v3, v14, v73
	s_waitcnt vmcnt(17)
	v_mul_f32_e32 v4, v17, v63
	v_mul_f32_e32 v5, v16, v63
	v_fmac_f32_e32 v4, v16, v62
	v_fma_f32 v5, v17, v62, -v5
	ds_write2_b64 v113, v[0:1], v[4:5] offset0:47 offset1:110
	s_waitcnt vmcnt(15)
	v_mul_f32_e32 v0, v19, v61
	v_mul_f32_e32 v1, v18, v61
	v_fmac_f32_e32 v2, v14, v72
	v_fma_f32 v3, v15, v72, -v3
	v_fmac_f32_e32 v0, v18, v60
	v_fma_f32 v1, v19, v60, -v1
	ds_write2_b64 v121, v[2:3], v[0:1] offset0:122 offset1:185
	v_accvgpr_write_b32 a46, v74
	v_accvgpr_write_b32 a38, v60
	s_waitcnt vmcnt(13)
	v_mul_f32_e32 v0, v21, v59
	v_mul_f32_e32 v1, v20, v59
	v_fmac_f32_e32 v0, v20, v58
	v_fma_f32 v1, v21, v58, -v1
	s_waitcnt vmcnt(11)
	v_mul_f32_e32 v2, v23, v57
	v_mul_f32_e32 v3, v22, v57
	v_fmac_f32_e32 v2, v22, v56
	v_fma_f32 v3, v23, v56, -v3
	;; [unrolled: 5-line block ×3, first 2 shown]
	ds_write2_b64 v113, v[0:1], v[4:5] offset0:173 offset1:236
	v_accvgpr_write_b32 a36, v58
	v_accvgpr_write_b32 a34, v56
	s_waitcnt vmcnt(8)
	v_mul_f32_e32 v0, v27, v45
	v_mul_f32_e32 v1, v26, v45
	v_fmac_f32_e32 v0, v26, v44
	v_fma_f32 v1, v27, v44, -v1
	ds_write2_b64 v127, v[2:3], v[0:1] offset0:120 offset1:183
	v_accvgpr_write_b32 a32, v54
	s_waitcnt vmcnt(6)
	v_mul_f32_e32 v0, v29, v53
	v_mul_f32_e32 v1, v28, v53
	v_fmac_f32_e32 v0, v28, v52
	v_fma_f32 v1, v29, v52, -v1
	v_accvgpr_write_b32 a4, v44
	v_accvgpr_write_b32 a28, v52
	s_waitcnt vmcnt(5)
	v_mul_f32_e32 v2, v31, v43
	v_mul_f32_e32 v3, v30, v43
	v_fmac_f32_e32 v2, v30, v42
	v_fma_f32 v3, v31, v42, -v3
	v_accvgpr_write_b32 a2, v42
	v_accvgpr_write_b32 a0, v40
	s_waitcnt vmcnt(3)
	v_mul_f32_e32 v4, v33, v51
	v_mul_f32_e32 v5, v32, v51
	v_fmac_f32_e32 v4, v32, v50
	v_fma_f32 v5, v33, v50, -v5
	ds_write2_b64 v122, v[0:1], v[4:5] offset0:43 offset1:106
	s_waitcnt vmcnt(2)
	v_mul_f32_e32 v0, v37, v41
	v_mul_f32_e32 v1, v36, v41
	v_fmac_f32_e32 v0, v36, v40
	v_fma_f32 v1, v37, v40, -v1
	ds_write2_b64 v123, v[2:3], v[0:1] offset0:118 offset1:181
	v_accvgpr_write_b32 a20, v50
	v_accvgpr_write_b32 a47, v75
	s_waitcnt vmcnt(0)
	v_mul_f32_e32 v0, v39, v49
	v_mul_f32_e32 v1, v38, v49
	v_fmac_f32_e32 v0, v38, v48
	v_fma_f32 v1, v39, v48, -v1
	v_accvgpr_write_b32 a39, v61
	v_accvgpr_write_b32 a37, v59
	;; [unrolled: 1-line block ×9, first 2 shown]
	ds_write_b64 v184, v[0:1] offset:11592
	s_waitcnt lgkmcnt(0)
	; wave barrier
	s_waitcnt lgkmcnt(0)
	ds_read2_b64 v[2:5], v184 offset1:63
	ds_read2_b64 v[6:9], v124 offset0:116 offset1:179
	ds_read2_b64 v[14:17], v184 offset0:126 offset1:189
	;; [unrolled: 1-line block ×11, first 2 shown]
	v_accvgpr_write_b32 a48, v66
	s_mov_b64 s[2:3], 0x13b
	v_accvgpr_write_b32 a49, v67
	v_lshl_add_u64 v[66:67], v[204:205], 0, s[2:3]
	v_accvgpr_write_b32 a44, v70
	s_mov_b64 s[2:3], 0x17a
	v_accvgpr_write_b32 a45, v71
	v_lshl_add_u64 v[70:71], v[204:205], 0, s[2:3]
	v_accvgpr_write_b32 a42, v72
	s_mov_b64 s[2:3], 0x1b9
	v_accvgpr_write_b32 a14, v48
	v_accvgpr_write_b32 a6, v46
	;; [unrolled: 1-line block ×5, first 2 shown]
	v_lshl_add_u64 v[72:73], v[204:205], 0, s[2:3]
	v_lshlrev_b32_e32 v0, 1, v204
	s_waitcnt lgkmcnt(10)
	v_pk_add_f32 v[12:13], v[2:3], v[6:7] neg_lo:[0,1] neg_hi:[0,1]
	v_pk_add_f32 v[6:7], v[4:5], v[8:9] neg_lo:[0,1] neg_hi:[0,1]
	s_waitcnt lgkmcnt(8)
	v_pk_add_f32 v[24:25], v[14:15], v[18:19] neg_lo:[0,1] neg_hi:[0,1]
	v_pk_add_f32 v[18:19], v[16:17], v[20:21] neg_lo:[0,1] neg_hi:[0,1]
	;; [unrolled: 3-line block ×4, first 2 shown]
	s_waitcnt lgkmcnt(0)
	v_pk_add_f32 v[88:89], v[58:59], v[74:75] neg_lo:[0,1] neg_hi:[0,1]
	v_accvgpr_write_b32 a7, v47
	v_accvgpr_write_b32 a41, v63
	v_pk_fma_f32 v[10:11], v[2:3], 2.0, v[12:13] op_sel_hi:[1,0,1] neg_lo:[0,0,1] neg_hi:[0,0,1]
	v_lshlrev_b32_e32 v62, 4, v64
	v_pk_fma_f32 v[4:5], v[4:5], 2.0, v[6:7] op_sel_hi:[1,0,1] neg_lo:[0,0,1] neg_hi:[0,0,1]
	v_lshlrev_b32_e32 v3, 4, v84
	;; [unrolled: 2-line block ×8, first 2 shown]
	v_pk_add_f32 v[80:81], v[50:51], v[54:55] neg_lo:[0,1] neg_hi:[0,1]
	v_pk_add_f32 v[54:55], v[52:53], v[56:57] neg_lo:[0,1] neg_hi:[0,1]
	v_pk_fma_f32 v[86:87], v[58:59], 2.0, v[88:89] op_sel_hi:[1,0,1] neg_lo:[0,0,1] neg_hi:[0,0,1]
	v_pk_add_f32 v[58:59], v[60:61], v[76:77] neg_lo:[0,1] neg_hi:[0,1]
	v_pk_fma_f32 v[78:79], v[50:51], 2.0, v[80:81] op_sel_hi:[1,0,1] neg_lo:[0,0,1] neg_hi:[0,0,1]
	v_pk_fma_f32 v[52:53], v[52:53], 2.0, v[54:55] op_sel_hi:[1,0,1] neg_lo:[0,0,1] neg_hi:[0,0,1]
	;; [unrolled: 1-line block ×3, first 2 shown]
	s_waitcnt lgkmcnt(0)
	; wave barrier
	ds_write_b128 v168, v[10:13]
	ds_write_b128 v62, v[4:7]
	ds_write_b128 v3, v[22:25]
	ds_write_b128 v14, v[16:19]
	ds_write_b128 v8, v[34:37]
	ds_write_b128 v15, v[28:31]
	ds_write_b128 v9, v[46:49]
	ds_write_b128 v2, v[40:43]
	ds_write_b128 v1, v[78:81] offset:8064
	ds_write_b128 v168, v[52:55] offset:9072
	ds_write_b128 v168, v[86:89] offset:10080
	ds_write_b128 v168, v[56:59] offset:11088
	v_and_b32_e32 v1, 1, v112
	v_and_b32_e32 v5, 1, v72
	v_accvgpr_write_b32 a148, v3
	v_accvgpr_write_b32 a141, v2
	v_lshlrev_b32_e32 v2, 3, v1
	v_and_b32_e32 v3, 1, v66
	v_lshlrev_b32_e32 v6, 3, v5
	v_and_b32_e32 v7, 1, v83
	v_accvgpr_write_b32 a149, v8
	s_waitcnt lgkmcnt(0)
	; wave barrier
	s_waitcnt lgkmcnt(0)
	v_lshlrev_b32_e32 v4, 3, v3
	v_lshlrev_b32_e32 v8, 3, v7
	global_load_dwordx2 v[46:47], v2, s[10:11]
	global_load_dwordx2 v[196:197], v4, s[10:11]
	;; [unrolled: 1-line block ×4, first 2 shown]
	v_and_b32_e32 v6, 1, v185
	v_lshlrev_b32_e32 v2, 3, v6
	global_load_dword v10, v2, s[10:11] offset:4
	global_load_dwordx2 v[194:195], v2, s[10:11]
	v_and_b32_e32 v2, 1, v204
	v_lshlrev_b32_e32 v4, 3, v2
	global_load_dwordx2 v[190:191], v4, s[10:11]
	v_and_b32_e32 v4, 1, v64
	v_lshlrev_b32_e32 v8, 3, v4
	global_load_dword v82, v8, s[10:11]
	s_movk_i32 s2, 0x7c
	v_lshlrev_b32_e32 v54, 1, v64
	v_and_or_b32 v8, v0, s2, v2
	s_movk_i32 s2, 0xfc
	v_lshlrev_b32_e32 v55, 1, v84
	v_lshlrev_b32_e32 v56, 1, v112
	v_and_or_b32 v4, v54, s2, v4
	s_movk_i32 s2, 0x1fc
	v_lshlrev_b32_e32 v57, 1, v68
	v_lshlrev_b32_e32 v79, 3, v4
	v_and_or_b32 v4, v55, s2, v2
	v_and_or_b32 v1, v56, s2, v1
	s_movk_i32 s2, 0x3fc
	v_lshlrev_b32_e32 v58, 1, v66
	v_lshlrev_b32_e32 v77, 3, v1
	v_and_or_b32 v1, v57, s2, v2
	s_movk_i32 s3, 0x2fc
	v_lshlrev_b32_e32 v59, 1, v70
	v_lshlrev_b32_e32 v76, 3, v1
	v_and_or_b32 v1, v58, s3, v3
	v_lshlrev_b32_e32 v60, 1, v72
	v_lshlrev_b32_e32 v75, 3, v1
	v_and_or_b32 v1, v59, s2, v2
	v_add_u32_e32 v86, 0x3f0, v0
	v_lshlrev_b32_e32 v74, 3, v1
	v_and_or_b32 v1, v60, s2, v5
	s_movk_i32 s2, 0x7fc
	v_add_u32_e32 v81, 0x276, v204
	v_lshlrev_b32_e32 v61, 1, v83
	v_lshlrev_b32_e32 v73, 3, v1
	v_and_or_b32 v1, v86, s2, v2
	s_movk_i32 s2, 0x4fc
	v_accvgpr_write_b32 a155, v62
	v_lshlrev_b32_e32 v62, 1, v81
	v_lshlrev_b32_e32 v71, 3, v1
	v_and_or_b32 v1, v61, s2, v7
	s_movk_i32 s2, 0x5fc
	v_lshlrev_b32_e32 v78, 3, v4
	v_lshlrev_b32_e32 v69, 3, v1
	v_and_or_b32 v1, v62, s2, v2
	ds_read2_b64 v[2:5], v122 offset0:106 offset1:169
	v_lshlrev_b32_e32 v63, 1, v185
	v_accvgpr_write_b32 a152, v9
	v_lshlrev_b32_e32 v80, 3, v8
	v_lshlrev_b32_e32 v67, 3, v1
	v_and_or_b32 v1, v63, s2, v6
	ds_read2_b64 v[6:9], v123 offset0:118 offset1:181
	v_accvgpr_write_b32 a156, v14
	v_accvgpr_write_b32 a157, v15
	v_lshlrev_b32_e32 v1, 3, v1
	v_accvgpr_write_b32 a61, v1
	s_movk_i32 s2, 0x78
	v_accvgpr_write_b32 a76, v74
	v_accvgpr_write_b32 a75, v73
	;; [unrolled: 1-line block ×4, first 2 shown]
	s_movk_i32 s3, 0x2f8
	v_accvgpr_write_b32 a68, v67
	v_accvgpr_write_b32 a79, v77
	;; [unrolled: 1-line block ×9, first 2 shown]
	s_load_dwordx2 s[12:13], s[0:1], 0x38
	s_waitcnt vmcnt(7)
	v_mov_b32_e32 v42, v47
	s_waitcnt vmcnt(6)
	v_mov_b32_e32 v34, v197
	;; [unrolled: 2-line block ×4, first 2 shown]
	v_accvgpr_write_b32 a162, v23
	s_waitcnt vmcnt(3)
	v_accvgpr_write_b32 a164, v10
	s_waitcnt lgkmcnt(0)
	v_pk_mul_f32 v[10:11], v[4:5], v[10:11] op_sel_hi:[1,0]
	v_accvgpr_write_b32 a160, v22
	s_waitcnt vmcnt(2)
	v_pk_fma_f32 v[12:13], v[4:5], v[194:195], v[10:11] op_sel:[0,0,1] op_sel_hi:[1,1,0] neg_lo:[0,0,1] neg_hi:[0,0,1]
	v_pk_fma_f32 v[4:5], v[4:5], v[194:195], v[10:11] op_sel:[0,0,1] op_sel_hi:[1,0,0]
	v_accvgpr_write_b32 a136, v47
	v_mov_b32_e32 v13, v5
	v_pk_add_f32 v[10:11], v[8:9], v[12:13] neg_lo:[0,1] neg_hi:[0,1]
	s_waitcnt vmcnt(1)
	v_pk_mul_f32 v[4:5], v[2:3], v[190:191] op_sel:[0,1]
	v_pk_fma_f32 v[12:13], v[8:9], 2.0, v[10:11] op_sel_hi:[1,0,1] neg_lo:[0,0,1] neg_hi:[0,0,1]
	v_pk_fma_f32 v[8:9], v[2:3], v[190:191], v[4:5] op_sel:[0,0,1] op_sel_hi:[1,1,0] neg_lo:[0,0,1] neg_hi:[0,0,1]
	v_pk_fma_f32 v[14:15], v[2:3], v[190:191], v[4:5] op_sel:[0,0,1] op_sel_hi:[1,0,0]
	ds_read2_b64 v[2:5], v85 offset0:108 offset1:171
	v_mov_b32_e32 v9, v15
	v_pk_add_f32 v[14:15], v[6:7], v[8:9] neg_lo:[0,1] neg_hi:[0,1]
	v_accvgpr_write_b32 a120, v46
	v_pk_fma_f32 v[16:17], v[6:7], 2.0, v[14:15] op_sel_hi:[1,0,1] neg_lo:[0,0,1] neg_hi:[0,0,1]
	ds_read2_b64 v[6:9], v127 offset0:120 offset1:183
	s_waitcnt lgkmcnt(1)
	v_pk_mul_f32 v[18:19], v[4:5], v[18:19] op_sel_hi:[1,0]
	s_waitcnt vmcnt(0)
	v_accvgpr_write_b32 a106, v82
	v_pk_fma_f32 v[20:21], v[4:5], v[22:23], v[18:19] op_sel:[0,0,1] op_sel_hi:[1,1,0] neg_lo:[0,0,1] neg_hi:[0,0,1]
	v_pk_fma_f32 v[4:5], v[4:5], v[22:23], v[18:19] op_sel:[0,0,1] op_sel_hi:[1,0,0]
	v_accvgpr_write_b32 a158, v199
	v_mov_b32_e32 v21, v5
	s_waitcnt lgkmcnt(0)
	v_pk_add_f32 v[18:19], v[8:9], v[20:21] neg_lo:[0,1] neg_hi:[0,1]
	v_pk_mul_f32 v[4:5], v[2:3], v[190:191] op_sel:[0,1]
	v_pk_fma_f32 v[20:21], v[8:9], 2.0, v[18:19] op_sel_hi:[1,0,1] neg_lo:[0,0,1] neg_hi:[0,0,1]
	v_pk_fma_f32 v[8:9], v[2:3], v[190:191], v[4:5] op_sel:[0,0,1] op_sel_hi:[1,1,0] neg_lo:[0,0,1] neg_hi:[0,0,1]
	v_pk_fma_f32 v[22:23], v[2:3], v[190:191], v[4:5] op_sel:[0,0,1] op_sel_hi:[1,0,0]
	ds_read2_b64 v[2:5], v113 offset0:110 offset1:173
	v_mov_b32_e32 v9, v23
	v_pk_add_f32 v[22:23], v[6:7], v[8:9] neg_lo:[0,1] neg_hi:[0,1]
	v_accvgpr_write_b32 a154, v197
	v_pk_fma_f32 v[24:25], v[6:7], 2.0, v[22:23] op_sel_hi:[1,0,1] neg_lo:[0,0,1] neg_hi:[0,0,1]
	ds_read2_b64 v[6:9], v121 offset0:122 offset1:185
	s_waitcnt lgkmcnt(1)
	v_pk_mul_f32 v[26:27], v[4:5], v[26:27] op_sel_hi:[1,0]
	v_cmp_lt_u16_e64 s[0:1], 26, v204
	v_pk_fma_f32 v[28:29], v[4:5], v[198:199], v[26:27] op_sel:[0,0,1] op_sel_hi:[1,1,0] neg_lo:[0,0,1] neg_hi:[0,0,1]
	v_pk_fma_f32 v[4:5], v[4:5], v[198:199], v[26:27] op_sel:[0,0,1] op_sel_hi:[1,0,0]
	s_nop 0
	v_mov_b32_e32 v29, v5
	s_waitcnt lgkmcnt(0)
	v_pk_add_f32 v[26:27], v[8:9], v[28:29] neg_lo:[0,1] neg_hi:[0,1]
	v_pk_mul_f32 v[4:5], v[2:3], v[190:191] op_sel:[0,1]
	v_pk_fma_f32 v[28:29], v[8:9], 2.0, v[26:27] op_sel_hi:[1,0,1] neg_lo:[0,0,1] neg_hi:[0,0,1]
	v_pk_fma_f32 v[8:9], v[2:3], v[190:191], v[4:5] op_sel:[0,0,1] op_sel_hi:[1,1,0] neg_lo:[0,0,1] neg_hi:[0,0,1]
	v_pk_fma_f32 v[30:31], v[2:3], v[190:191], v[4:5] op_sel:[0,0,1] op_sel_hi:[1,0,0]
	ds_read2_b64 v[2:5], v125 offset0:112 offset1:175
	v_mov_b32_e32 v9, v31
	v_pk_add_f32 v[30:31], v[6:7], v[8:9] neg_lo:[0,1] neg_hi:[0,1]
	s_waitcnt lgkmcnt(0)
	v_pk_mul_f32 v[34:35], v[4:5], v[34:35] op_sel_hi:[1,0]
	v_pk_fma_f32 v[32:33], v[6:7], 2.0, v[30:31] op_sel_hi:[1,0,1] neg_lo:[0,0,1] neg_hi:[0,0,1]
	ds_read2_b64 v[6:9], v126 offset0:124 offset1:187
	v_pk_fma_f32 v[36:37], v[4:5], v[196:197], v[34:35] op_sel:[0,0,1] op_sel_hi:[1,1,0] neg_lo:[0,0,1] neg_hi:[0,0,1]
	v_pk_fma_f32 v[4:5], v[4:5], v[196:197], v[34:35] op_sel:[0,0,1] op_sel_hi:[1,0,0]
	s_nop 0
	v_mov_b32_e32 v37, v5
	s_waitcnt lgkmcnt(0)
	v_pk_add_f32 v[34:35], v[8:9], v[36:37] neg_lo:[0,1] neg_hi:[0,1]
	v_pk_mul_f32 v[4:5], v[2:3], v[190:191] op_sel:[0,1]
	v_pk_fma_f32 v[36:37], v[8:9], 2.0, v[34:35] op_sel_hi:[1,0,1] neg_lo:[0,0,1] neg_hi:[0,0,1]
	v_pk_fma_f32 v[8:9], v[2:3], v[190:191], v[4:5] op_sel:[0,0,1] op_sel_hi:[1,1,0] neg_lo:[0,0,1] neg_hi:[0,0,1]
	v_pk_fma_f32 v[38:39], v[2:3], v[190:191], v[4:5] op_sel:[0,0,1] op_sel_hi:[1,0,0]
	ds_read2_b64 v[2:5], v120 offset0:114 offset1:177
	v_mov_b32_e32 v9, v39
	v_pk_add_f32 v[38:39], v[6:7], v[8:9] neg_lo:[0,1] neg_hi:[0,1]
	s_waitcnt lgkmcnt(0)
	v_pk_mul_f32 v[42:43], v[4:5], v[42:43] op_sel_hi:[1,0]
	v_pk_fma_f32 v[40:41], v[6:7], 2.0, v[38:39] op_sel_hi:[1,0,1] neg_lo:[0,0,1] neg_hi:[0,0,1]
	ds_read2_b64 v[6:9], v184 offset0:126 offset1:189
	v_pk_fma_f32 v[44:45], v[4:5], v[46:47], v[42:43] op_sel:[0,0,1] op_sel_hi:[1,1,0] neg_lo:[0,0,1] neg_hi:[0,0,1]
	v_pk_fma_f32 v[4:5], v[4:5], v[46:47], v[42:43] op_sel:[0,0,1] op_sel_hi:[1,0,0]
	s_nop 0
	v_mov_b32_e32 v45, v5
	s_waitcnt lgkmcnt(0)
	v_pk_add_f32 v[42:43], v[8:9], v[44:45] neg_lo:[0,1] neg_hi:[0,1]
	v_pk_mul_f32 v[4:5], v[2:3], v[190:191] op_sel:[0,1]
	v_pk_fma_f32 v[44:45], v[8:9], 2.0, v[42:43] op_sel_hi:[1,0,1] neg_lo:[0,0,1] neg_hi:[0,0,1]
	v_pk_fma_f32 v[8:9], v[2:3], v[190:191], v[4:5] op_sel:[0,0,1] op_sel_hi:[1,1,0] neg_lo:[0,0,1] neg_hi:[0,0,1]
	v_pk_fma_f32 v[46:47], v[2:3], v[190:191], v[4:5] op_sel:[0,0,1] op_sel_hi:[1,0,0]
	ds_read2_b64 v[2:5], v124 offset0:116 offset1:179
	v_mov_b32_e32 v9, v47
	v_pk_add_f32 v[46:47], v[6:7], v[8:9] neg_lo:[0,1] neg_hi:[0,1]
	s_waitcnt lgkmcnt(0)
	v_pk_mul_f32 v[50:51], v[4:5], v[194:195] op_sel:[0,1]
	v_pk_fma_f32 v[48:49], v[6:7], 2.0, v[46:47] op_sel_hi:[1,0,1] neg_lo:[0,0,1] neg_hi:[0,0,1]
	ds_read2_b64 v[6:9], v184 offset1:63
	v_pk_fma_f32 v[52:53], v[4:5], v[82:83], v[50:51] op_sel:[0,0,1] op_sel_hi:[1,1,0] neg_lo:[0,0,1] neg_hi:[0,0,1]
	v_pk_fma_f32 v[4:5], v[4:5], v[82:83], v[50:51] op_sel:[0,0,1] op_sel_hi:[1,0,0]
	v_pk_mul_f32 v[50:51], v[2:3], v[190:191] op_sel:[0,1]
	v_mov_b32_e32 v53, v5
	s_waitcnt lgkmcnt(0)
	v_pk_add_f32 v[4:5], v[8:9], v[52:53] neg_lo:[0,1] neg_hi:[0,1]
	v_pk_fma_f32 v[52:53], v[2:3], v[190:191], v[50:51] op_sel:[0,0,1] op_sel_hi:[1,1,0] neg_lo:[0,0,1] neg_hi:[0,0,1]
	v_pk_fma_f32 v[2:3], v[2:3], v[190:191], v[50:51] op_sel:[0,0,1] op_sel_hi:[1,0,0]
	v_pk_fma_f32 v[8:9], v[8:9], 2.0, v[4:5] op_sel_hi:[1,0,1] neg_lo:[0,0,1] neg_hi:[0,0,1]
	v_mov_b32_e32 v53, v3
	v_pk_add_f32 v[2:3], v[6:7], v[52:53] neg_lo:[0,1] neg_hi:[0,1]
	s_nop 0
	v_pk_fma_f32 v[6:7], v[6:7], 2.0, v[2:3] op_sel_hi:[1,0,1] neg_lo:[0,0,1] neg_hi:[0,0,1]
	; wave barrier
	ds_write2_b64 v80, v[6:7], v[2:3] offset1:2
	ds_write2_b64 v79, v[8:9], v[4:5] offset1:2
	;; [unrolled: 1-line block ×12, first 2 shown]
	v_and_b32_e32 v1, 3, v66
	v_and_b32_e32 v3, 3, v70
	v_lshlrev_b32_e32 v2, 3, v1
	v_lshlrev_b32_e32 v4, 3, v3
	v_and_b32_e32 v5, 3, v72
	s_waitcnt lgkmcnt(0)
	; wave barrier
	s_waitcnt lgkmcnt(0)
	global_load_dwordx2 v[28:29], v4, s[10:11] offset:16
	global_load_dwordx2 v[36:37], v2, s[10:11] offset:16
	v_lshlrev_b32_e32 v2, 3, v5
	v_and_b32_e32 v4, 3, v185
	global_load_dwordx2 v[30:31], v2, s[10:11] offset:16
	v_lshlrev_b32_e32 v2, 3, v4
	global_load_dword v12, v2, s[10:11] offset:20
	global_load_dwordx2 v[192:193], v2, s[10:11] offset:16
	v_and_b32_e32 v7, 3, v112
	v_and_b32_e32 v2, 3, v81
	v_lshlrev_b32_e32 v8, 3, v7
	v_lshlrev_b32_e32 v6, 3, v2
	global_load_dword v48, v8, s[10:11] offset:16
	global_load_dword v14, v6, s[10:11] offset:20
	global_load_dwordx2 v[44:45], v6, s[10:11] offset:16
	v_and_b32_e32 v6, 3, v83
	v_lshlrev_b32_e32 v8, 3, v6
	global_load_dword v16, v8, s[10:11] offset:20
	global_load_dwordx2 v[186:187], v8, s[10:11] offset:16
	v_and_b32_e32 v8, 3, v204
	v_lshlrev_b32_e32 v9, 3, v8
	global_load_dwordx2 v[238:239], v9, s[10:11] offset:16
	v_and_b32_e32 v9, 3, v64
	v_lshlrev_b32_e32 v10, 3, v9
	global_load_dword v188, v10, s[10:11] offset:16
	v_and_b32_e32 v10, 3, v84
	v_lshlrev_b32_e32 v11, 3, v10
	global_load_dword v46, v11, s[10:11] offset:16
	v_and_or_b32 v0, v0, s2, v8
	s_movk_i32 s2, 0xf8
	v_lshlrev_b32_e32 v74, 3, v0
	v_and_or_b32 v0, v54, s2, v9
	s_movk_i32 s2, 0x1f8
	v_lshlrev_b32_e32 v73, 3, v0
	v_and_or_b32 v0, v55, s2, v10
	v_lshlrev_b32_e32 v71, 3, v0
	v_and_or_b32 v0, v56, s2, v7
	s_movk_i32 s2, 0x3f8
	v_lshlrev_b32_e32 v69, 3, v0
	v_and_or_b32 v0, v57, s2, v8
	v_lshlrev_b32_e32 v67, 3, v0
	v_and_or_b32 v0, v58, s3, v1
	v_lshlrev_b32_e32 v58, 3, v0
	v_and_or_b32 v0, v59, s2, v3
	v_lshlrev_b32_e32 v57, 3, v0
	v_and_or_b32 v0, v60, s2, v5
	s_movk_i32 s2, 0x7f8
	v_lshlrev_b32_e32 v56, 3, v0
	v_and_or_b32 v0, v86, s2, v8
	s_movk_i32 s2, 0x4f8
	v_lshlrev_b32_e32 v53, 3, v0
	v_and_or_b32 v0, v61, s2, v6
	;; [unrolled: 3-line block ×3, first 2 shown]
	ds_read2_b64 v[0:3], v122 offset0:106 offset1:169
	v_and_or_b32 v4, v63, s2, v4
	v_lshlrev_b32_e32 v54, 3, v5
	v_lshlrev_b32_e32 v55, 3, v4
	ds_read2_b64 v[4:7], v123 offset0:118 offset1:181
	v_accvgpr_write_b32 a56, v67
	v_accvgpr_write_b32 a58, v71
	;; [unrolled: 1-line block ×7, first 2 shown]
	s_mov_b32 s2, 0x3f5db3d7
	v_accvgpr_write_b32 a54, v57
	v_accvgpr_write_b32 a53, v56
	;; [unrolled: 1-line block ×5, first 2 shown]
	s_waitcnt vmcnt(12)
	v_mov_b32_e32 v34, v29
	v_accvgpr_write_b32 a114, v29
	v_accvgpr_write_b32 a82, v28
	s_waitcnt vmcnt(11)
	v_mov_b32_e32 v32, v37
	s_waitcnt vmcnt(10)
	v_mov_b32_e32 v24, v31
	s_waitcnt vmcnt(9) lgkmcnt(1)
	v_pk_mul_f32 v[8:9], v[2:3], v[12:13] op_sel_hi:[1,0]
	v_accvgpr_write_b32 a142, v12
	s_waitcnt vmcnt(8)
	v_pk_fma_f32 v[10:11], v[2:3], v[192:193], v[8:9] op_sel:[0,0,1] op_sel_hi:[1,1,0] neg_lo:[0,0,1] neg_hi:[0,0,1]
	v_pk_fma_f32 v[2:3], v[2:3], v[192:193], v[8:9] op_sel:[0,0,1] op_sel_hi:[1,0,0]
	v_accvgpr_write_b32 a124, v31
	v_mov_b32_e32 v11, v3
	s_waitcnt lgkmcnt(0)
	v_pk_add_f32 v[8:9], v[6:7], v[10:11] neg_lo:[0,1] neg_hi:[0,1]
	s_waitcnt vmcnt(6)
	v_pk_mul_f32 v[2:3], v[0:1], v[14:15] op_sel_hi:[1,0]
	v_pk_fma_f32 v[10:11], v[6:7], 2.0, v[8:9] op_sel_hi:[1,0,1] neg_lo:[0,0,1] neg_hi:[0,0,1]
	s_waitcnt vmcnt(5)
	v_pk_fma_f32 v[6:7], v[0:1], v[44:45], v[2:3] op_sel:[0,0,1] op_sel_hi:[1,1,0] neg_lo:[0,0,1] neg_hi:[0,0,1]
	v_pk_fma_f32 v[12:13], v[0:1], v[44:45], v[2:3] op_sel:[0,0,1] op_sel_hi:[1,0,0]
	ds_read2_b64 v[0:3], v85 offset0:108 offset1:171
	v_mov_b32_e32 v7, v13
	v_pk_add_f32 v[12:13], v[4:5], v[6:7] neg_lo:[0,1] neg_hi:[0,1]
	v_accvgpr_write_b32 a150, v14
	v_pk_fma_f32 v[14:15], v[4:5], 2.0, v[12:13] op_sel_hi:[1,0,1] neg_lo:[0,0,1] neg_hi:[0,0,1]
	ds_read2_b64 v[4:7], v127 offset0:120 offset1:183
	s_waitcnt vmcnt(4)
	v_accvgpr_write_b32 a144, v16
	s_waitcnt lgkmcnt(1)
	v_pk_mul_f32 v[16:17], v[2:3], v[16:17] op_sel_hi:[1,0]
	v_accvgpr_write_b32 a88, v30
	s_waitcnt vmcnt(3)
	v_pk_fma_f32 v[18:19], v[2:3], v[186:187], v[16:17] op_sel:[0,0,1] op_sel_hi:[1,1,0] neg_lo:[0,0,1] neg_hi:[0,0,1]
	v_pk_fma_f32 v[2:3], v[2:3], v[186:187], v[16:17] op_sel:[0,0,1] op_sel_hi:[1,0,0]
	v_accvgpr_write_b32 a100, v37
	v_mov_b32_e32 v19, v3
	s_waitcnt lgkmcnt(0)
	v_pk_add_f32 v[16:17], v[6:7], v[18:19] neg_lo:[0,1] neg_hi:[0,1]
	s_waitcnt vmcnt(2)
	v_pk_mul_f32 v[2:3], v[0:1], v[238:239] op_sel:[0,1]
	v_pk_fma_f32 v[18:19], v[6:7], 2.0, v[16:17] op_sel_hi:[1,0,1] neg_lo:[0,0,1] neg_hi:[0,0,1]
	v_pk_fma_f32 v[6:7], v[0:1], v[238:239], v[2:3] op_sel:[0,0,1] op_sel_hi:[1,1,0] neg_lo:[0,0,1] neg_hi:[0,0,1]
	v_pk_fma_f32 v[20:21], v[0:1], v[238:239], v[2:3] op_sel:[0,0,1] op_sel_hi:[1,0,0]
	ds_read2_b64 v[0:3], v113 offset0:110 offset1:173
	v_mov_b32_e32 v7, v21
	v_pk_add_f32 v[20:21], v[4:5], v[6:7] neg_lo:[0,1] neg_hi:[0,1]
	v_accvgpr_write_b32 a80, v36
	v_pk_fma_f32 v[22:23], v[4:5], 2.0, v[20:21] op_sel_hi:[1,0,1] neg_lo:[0,0,1] neg_hi:[0,0,1]
	ds_read2_b64 v[4:7], v121 offset0:122 offset1:185
	s_waitcnt lgkmcnt(1)
	v_pk_mul_f32 v[24:25], v[2:3], v[24:25] op_sel_hi:[1,0]
	v_accvgpr_write_b32 a67, v45
	v_pk_fma_f32 v[26:27], v[2:3], v[30:31], v[24:25] op_sel:[0,0,1] op_sel_hi:[1,1,0] neg_lo:[0,0,1] neg_hi:[0,0,1]
	v_pk_fma_f32 v[2:3], v[2:3], v[30:31], v[24:25] op_sel:[0,0,1] op_sel_hi:[1,0,0]
	v_accvgpr_write_b32 a66, v44
	v_mov_b32_e32 v27, v3
	s_waitcnt lgkmcnt(0)
	v_pk_add_f32 v[24:25], v[6:7], v[26:27] neg_lo:[0,1] neg_hi:[0,1]
	v_pk_mul_f32 v[2:3], v[0:1], v[34:35] op_sel_hi:[1,0]
	v_pk_fma_f32 v[26:27], v[6:7], 2.0, v[24:25] op_sel_hi:[1,0,1] neg_lo:[0,0,1] neg_hi:[0,0,1]
	v_pk_fma_f32 v[6:7], v[0:1], v[28:29], v[2:3] op_sel:[0,0,1] op_sel_hi:[1,1,0] neg_lo:[0,0,1] neg_hi:[0,0,1]
	v_pk_fma_f32 v[28:29], v[0:1], v[28:29], v[2:3] op_sel:[0,0,1] op_sel_hi:[1,0,0]
	ds_read2_b64 v[0:3], v125 offset0:112 offset1:175
	v_mov_b32_e32 v7, v29
	v_pk_add_f32 v[28:29], v[4:5], v[6:7] neg_lo:[0,1] neg_hi:[0,1]
	s_waitcnt vmcnt(0)
	v_accvgpr_write_b32 a70, v46
	v_pk_fma_f32 v[30:31], v[4:5], 2.0, v[28:29] op_sel_hi:[1,0,1] neg_lo:[0,0,1] neg_hi:[0,0,1]
	ds_read2_b64 v[4:7], v126 offset0:124 offset1:187
	s_waitcnt lgkmcnt(1)
	v_pk_mul_f32 v[32:33], v[2:3], v[32:33] op_sel_hi:[1,0]
	v_accvgpr_write_b32 a72, v48
	v_pk_fma_f32 v[34:35], v[2:3], v[36:37], v[32:33] op_sel:[0,0,1] op_sel_hi:[1,1,0] neg_lo:[0,0,1] neg_hi:[0,0,1]
	v_pk_fma_f32 v[2:3], v[2:3], v[36:37], v[32:33] op_sel:[0,0,1] op_sel_hi:[1,0,0]
	s_nop 0
	v_mov_b32_e32 v35, v3
	s_waitcnt lgkmcnt(0)
	v_pk_add_f32 v[32:33], v[6:7], v[34:35] neg_lo:[0,1] neg_hi:[0,1]
	v_pk_mul_f32 v[2:3], v[0:1], v[238:239] op_sel:[0,1]
	v_pk_fma_f32 v[34:35], v[6:7], 2.0, v[32:33] op_sel_hi:[1,0,1] neg_lo:[0,0,1] neg_hi:[0,0,1]
	v_pk_fma_f32 v[6:7], v[0:1], v[238:239], v[2:3] op_sel:[0,0,1] op_sel_hi:[1,1,0] neg_lo:[0,0,1] neg_hi:[0,0,1]
	v_pk_fma_f32 v[36:37], v[0:1], v[238:239], v[2:3] op_sel:[0,0,1] op_sel_hi:[1,0,0]
	ds_read2_b64 v[0:3], v120 offset0:114 offset1:177
	v_mov_b32_e32 v7, v37
	v_pk_add_f32 v[36:37], v[4:5], v[6:7] neg_lo:[0,1] neg_hi:[0,1]
	s_waitcnt lgkmcnt(0)
	v_pk_mul_f32 v[40:41], v[2:3], v[192:193] op_sel:[0,1]
	v_pk_fma_f32 v[38:39], v[4:5], 2.0, v[36:37] op_sel_hi:[1,0,1] neg_lo:[0,0,1] neg_hi:[0,0,1]
	ds_read2_b64 v[4:7], v184 offset0:126 offset1:189
	v_pk_fma_f32 v[42:43], v[2:3], v[48:49], v[40:41] op_sel:[0,0,1] op_sel_hi:[1,1,0] neg_lo:[0,0,1] neg_hi:[0,0,1]
	v_pk_fma_f32 v[2:3], v[2:3], v[48:49], v[40:41] op_sel:[0,0,1] op_sel_hi:[1,0,0]
	s_nop 0
	v_mov_b32_e32 v43, v3
	s_waitcnt lgkmcnt(0)
	v_pk_add_f32 v[40:41], v[6:7], v[42:43] neg_lo:[0,1] neg_hi:[0,1]
	v_pk_mul_f32 v[2:3], v[0:1], v[44:45] op_sel:[0,1]
	v_pk_fma_f32 v[42:43], v[6:7], 2.0, v[40:41] op_sel_hi:[1,0,1] neg_lo:[0,0,1] neg_hi:[0,0,1]
	v_pk_fma_f32 v[6:7], v[0:1], v[46:47], v[2:3] op_sel:[0,0,1] op_sel_hi:[1,1,0] neg_lo:[0,0,1] neg_hi:[0,0,1]
	v_pk_fma_f32 v[44:45], v[0:1], v[46:47], v[2:3] op_sel:[0,0,1] op_sel_hi:[1,0,0]
	ds_read2_b64 v[0:3], v124 offset0:116 offset1:179
	v_mov_b32_e32 v7, v45
	v_pk_add_f32 v[44:45], v[4:5], v[6:7] neg_lo:[0,1] neg_hi:[0,1]
	s_waitcnt lgkmcnt(0)
	v_pk_mul_f32 v[48:49], v[2:3], v[186:187] op_sel:[0,1]
	v_pk_fma_f32 v[46:47], v[4:5], 2.0, v[44:45] op_sel_hi:[1,0,1] neg_lo:[0,0,1] neg_hi:[0,0,1]
	ds_read2_b64 v[4:7], v184 offset1:63
	v_pk_fma_f32 v[50:51], v[2:3], v[188:189], v[48:49] op_sel:[0,0,1] op_sel_hi:[1,1,0] neg_lo:[0,0,1] neg_hi:[0,0,1]
	v_pk_fma_f32 v[2:3], v[2:3], v[188:189], v[48:49] op_sel:[0,0,1] op_sel_hi:[1,0,0]
	v_pk_mul_f32 v[48:49], v[0:1], v[238:239] op_sel:[0,1]
	v_mov_b32_e32 v51, v3
	s_waitcnt lgkmcnt(0)
	v_pk_add_f32 v[2:3], v[6:7], v[50:51] neg_lo:[0,1] neg_hi:[0,1]
	v_pk_fma_f32 v[50:51], v[0:1], v[238:239], v[48:49] op_sel:[0,0,1] op_sel_hi:[1,1,0] neg_lo:[0,0,1] neg_hi:[0,0,1]
	v_pk_fma_f32 v[0:1], v[0:1], v[238:239], v[48:49] op_sel:[0,0,1] op_sel_hi:[1,0,0]
	v_pk_fma_f32 v[6:7], v[6:7], 2.0, v[2:3] op_sel_hi:[1,0,1] neg_lo:[0,0,1] neg_hi:[0,0,1]
	v_mov_b32_e32 v51, v1
	v_pk_add_f32 v[0:1], v[4:5], v[50:51] neg_lo:[0,1] neg_hi:[0,1]
	s_nop 0
	v_pk_fma_f32 v[4:5], v[4:5], 2.0, v[0:1] op_sel_hi:[1,0,1] neg_lo:[0,0,1] neg_hi:[0,0,1]
	; wave barrier
	ds_write2_b64 v74, v[4:5], v[0:1] offset1:4
	ds_write2_b64 v73, v[6:7], v[2:3] offset1:4
	;; [unrolled: 1-line block ×5, first 2 shown]
	v_and_b32_e32 v67, 7, v68
	v_lshlrev_b32_e32 v0, 4, v67
	v_and_b32_e32 v69, 7, v66
	v_and_b32_e32 v71, 7, v70
	ds_write2_b64 v58, v[34:35], v[32:33] offset1:4
	ds_write2_b64 v57, v[30:31], v[28:29] offset1:4
	;; [unrolled: 1-line block ×7, first 2 shown]
	s_waitcnt lgkmcnt(0)
	; wave barrier
	s_waitcnt lgkmcnt(0)
	v_lshlrev_b32_e32 v1, 4, v69
	global_load_dwordx4 v[4:7], v0, s[10:11] offset:48
	global_load_dwordx4 v[8:11], v1, s[10:11] offset:48
	v_lshlrev_b32_e32 v0, 4, v71
	v_and_b32_e32 v73, 7, v72
	v_lshlrev_b32_e32 v20, 4, v133
	global_load_dwordx4 v[12:15], v0, s[10:11] offset:48
	ds_read2_b64 v[24:27], v120 offset0:114 offset1:177
	global_load_dwordx4 v[20:23], v20, s[10:11] offset:48
	v_lshlrev_b32_e32 v0, 4, v73
	global_load_dwordx4 v[16:19], v0, s[10:11] offset:48
	v_lshlrev_b32_e32 v0, 4, v132
	global_load_dwordx4 v[0:3], v0, s[10:11] offset:48
	ds_read2_b64 v[28:31], v122 offset0:106 offset1:169
	s_waitcnt vmcnt(5)
	v_mov_b32_e32 v48, v4
	s_waitcnt vmcnt(4)
	v_mov_b32_e32 v52, v8
	v_mov_b32_e32 v50, v11
	;; [unrolled: 1-line block ×3, first 2 shown]
	v_accvgpr_write_b32 a94, v4
	s_waitcnt vmcnt(3)
	v_mov_b32_e32 v40, v12
	v_mov_b32_e32 v42, v15
	v_accvgpr_write_b32 a92, v7
	v_accvgpr_write_b32 a110, v8
	s_waitcnt vmcnt(1)
	v_mov_b32_e32 v32, v16
	v_mov_b32_e32 v38, v19
	s_waitcnt lgkmcnt(1)
	v_pk_mul_f32 v[34:35], v[26:27], v[16:17] op_sel:[0,1]
	s_waitcnt vmcnt(0)
	v_accvgpr_write_b32 a96, v0
	v_pk_fma_f32 v[32:33], v[26:27], v[32:33], v[34:35] op_sel:[0,0,1] op_sel_hi:[1,1,0] neg_lo:[0,0,1] neg_hi:[0,0,1]
	v_pk_fma_f32 v[36:37], v[26:27], v[16:17], v[34:35] op_sel:[0,0,1] op_sel_hi:[1,0,0]
	s_waitcnt lgkmcnt(0)
	v_pk_mul_f32 v[26:27], v[30:31], v[38:39] op_sel_hi:[1,0]
	v_accvgpr_write_b32 a116, v3
	v_pk_fma_f32 v[34:35], v[30:31], v[18:19], v[26:27] op_sel:[0,0,1] op_sel_hi:[1,1,0] neg_lo:[0,0,1] neg_hi:[0,0,1]
	v_pk_fma_f32 v[38:39], v[30:31], v[18:19], v[26:27] op_sel:[0,0,1] op_sel_hi:[1,0,0]
	v_pk_mul_f32 v[26:27], v[24:25], v[12:13] op_sel:[0,1]
	v_pk_mul_f32 v[30:31], v[28:29], v[42:43] op_sel_hi:[1,0]
	v_pk_fma_f32 v[40:41], v[24:25], v[40:41], v[26:27] op_sel:[0,0,1] op_sel_hi:[1,1,0] neg_lo:[0,0,1] neg_hi:[0,0,1]
	v_pk_fma_f32 v[58:59], v[24:25], v[12:13], v[26:27] op_sel:[0,0,1] op_sel_hi:[1,0,0]
	ds_read2_b64 v[24:27], v124 offset0:116 offset1:179
	ds_read2_b64 v[42:45], v85 offset0:108 offset1:171
	v_pk_fma_f32 v[60:61], v[28:29], v[14:15], v[30:31] op_sel:[0,0,1] op_sel_hi:[1,1,0] neg_lo:[0,0,1] neg_hi:[0,0,1]
	v_pk_fma_f32 v[62:63], v[28:29], v[14:15], v[30:31] op_sel:[0,0,1] op_sel_hi:[1,0,0]
	v_mov_b32_e32 v41, v59
	s_waitcnt lgkmcnt(1)
	v_pk_mul_f32 v[28:29], v[26:27], v[8:9] op_sel:[0,1]
	v_mov_b32_e32 v61, v63
	v_pk_fma_f32 v[74:75], v[26:27], v[52:53], v[28:29] op_sel:[0,0,1] op_sel_hi:[1,1,0] neg_lo:[0,0,1] neg_hi:[0,0,1]
	v_pk_fma_f32 v[76:77], v[26:27], v[8:9], v[28:29] op_sel:[0,0,1] op_sel_hi:[1,0,0]
	s_waitcnt lgkmcnt(0)
	v_pk_mul_f32 v[26:27], v[44:45], v[50:51] op_sel_hi:[1,0]
	v_mov_b32_e32 v75, v77
	v_pk_fma_f32 v[78:79], v[44:45], v[10:11], v[26:27] op_sel:[0,0,1] op_sel_hi:[1,1,0] neg_lo:[0,0,1] neg_hi:[0,0,1]
	v_pk_fma_f32 v[80:81], v[44:45], v[10:11], v[26:27] op_sel:[0,0,1] op_sel_hi:[1,0,0]
	v_pk_mul_f32 v[26:27], v[24:25], v[4:5] op_sel:[0,1]
	v_mov_b32_e32 v79, v81
	v_pk_fma_f32 v[82:83], v[24:25], v[48:49], v[26:27] op_sel:[0,0,1] op_sel_hi:[1,1,0] neg_lo:[0,0,1] neg_hi:[0,0,1]
	v_pk_fma_f32 v[86:87], v[24:25], v[4:5], v[26:27] op_sel:[0,0,1] op_sel_hi:[1,0,0]
	v_pk_mul_f32 v[24:25], v[42:43], v[46:47] op_sel_hi:[1,0]
	v_mov_b32_e32 v4, v0
	v_pk_fma_f32 v[88:89], v[42:43], v[6:7], v[24:25] op_sel:[0,0,1] op_sel_hi:[1,1,0] neg_lo:[0,0,1] neg_hi:[0,0,1]
	v_pk_fma_f32 v[90:91], v[42:43], v[6:7], v[24:25] op_sel:[0,0,1] op_sel_hi:[1,0,0]
	ds_read2_b64 v[24:27], v123 offset0:118 offset1:181
	v_mov_b32_e32 v83, v87
	v_mov_b32_e32 v89, v91
	;; [unrolled: 1-line block ×4, first 2 shown]
	s_waitcnt lgkmcnt(0)
	v_pk_mul_f32 v[28:29], v[26:27], v[0:1] op_sel:[0,1]
	v_pk_add_f32 v[36:37], v[32:33], v[34:35]
	v_pk_fma_f32 v[92:93], v[26:27], v[4:5], v[28:29] op_sel:[0,0,1] op_sel_hi:[1,1,0] neg_lo:[0,0,1] neg_hi:[0,0,1]
	v_pk_fma_f32 v[94:95], v[26:27], v[0:1], v[28:29] op_sel:[0,0,1] op_sel_hi:[1,0,0]
	v_mov_b32_e32 v0, v20
	v_pk_mul_f32 v[26:27], v[24:25], v[20:21] op_sel:[0,1]
	v_and_b32_e32 v4, 7, v204
	v_pk_fma_f32 v[96:97], v[24:25], v[0:1], v[26:27] op_sel:[0,0,1] op_sel_hi:[1,1,0] neg_lo:[0,0,1] neg_hi:[0,0,1]
	v_pk_fma_f32 v[98:99], v[24:25], v[20:21], v[26:27] op_sel:[0,0,1] op_sel_hi:[1,0,0]
	ds_read2_b64 v[24:27], v113 offset0:110 offset1:173
	v_mov_b32_e32 v0, v3
	v_lshlrev_b32_e32 v7, 4, v4
	v_mov_b32_e32 v97, v99
	v_mov_b32_e32 v93, v95
	s_waitcnt lgkmcnt(0)
	v_pk_mul_f32 v[28:29], v[26:27], v[0:1] op_sel_hi:[1,0]
	v_mov_b32_e32 v0, v23
	v_pk_fma_f32 v[100:101], v[26:27], v[2:3], v[28:29] op_sel:[0,0,1] op_sel_hi:[1,1,0] neg_lo:[0,0,1] neg_hi:[0,0,1]
	v_pk_fma_f32 v[102:103], v[26:27], v[2:3], v[28:29] op_sel:[0,0,1] op_sel_hi:[1,0,0]
	v_pk_mul_f32 v[26:27], v[24:25], v[0:1] op_sel_hi:[1,0]
	v_and_b32_e32 v0, 7, v64
	v_lshlrev_b32_e32 v3, 4, v0
	v_pk_fma_f32 v[104:105], v[24:25], v[22:23], v[26:27] op_sel:[0,0,1] op_sel_hi:[1,1,0] neg_lo:[0,0,1] neg_hi:[0,0,1]
	v_pk_fma_f32 v[106:107], v[24:25], v[22:23], v[26:27] op_sel:[0,0,1] op_sel_hi:[1,0,0]
	global_load_dwordx4 v[28:31], v3, s[10:11] offset:48
	global_load_dwordx4 v[24:27], v7, s[10:11] offset:48
	ds_read2_b64 v[42:45], v127 offset0:120 offset1:183
	v_lshrrev_b32_e32 v3, 3, v204
	v_mul_u32_u24_e32 v3, 24, v3
	v_or_b32_e32 v3, v3, v4
	v_lshlrev_b32_e32 v3, 3, v3
	v_accvgpr_write_b32 a87, v3
	v_mov_b32_e32 v105, v107
	v_mov_b32_e32 v101, v103
	v_accvgpr_write_b32 a130, v12
	v_accvgpr_write_b32 a104, v11
	;; [unrolled: 1-line block ×7, first 2 shown]
	s_waitcnt vmcnt(1)
	v_mov_b32_e32 v8, v28
	s_waitcnt lgkmcnt(0)
	v_pk_mul_f32 v[46:47], v[44:45], v[28:29] op_sel:[0,1]
	s_waitcnt vmcnt(0)
	v_accvgpr_write_b32 a98, v24
	v_pk_fma_f32 v[108:109], v[44:45], v[8:9], v[46:47] op_sel:[0,0,1] op_sel_hi:[1,1,0] neg_lo:[0,0,1] neg_hi:[0,0,1]
	v_pk_fma_f32 v[110:111], v[44:45], v[28:29], v[46:47] op_sel:[0,0,1] op_sel_hi:[1,0,0]
	v_mov_b32_e32 v8, v24
	v_pk_mul_f32 v[44:45], v[42:43], v[24:25] op_sel:[0,1]
	v_mov_b32_e32 v109, v111
	v_pk_fma_f32 v[46:47], v[42:43], v[8:9], v[44:45] op_sel:[0,0,1] op_sel_hi:[1,1,0] neg_lo:[0,0,1] neg_hi:[0,0,1]
	v_pk_fma_f32 v[48:49], v[42:43], v[24:25], v[44:45] op_sel:[0,0,1] op_sel_hi:[1,0,0]
	ds_read2_b64 v[42:45], v125 offset0:112 offset1:175
	v_mov_b32_e32 v8, v31
	v_mov_b32_e32 v47, v49
	v_accvgpr_write_b32 a118, v27
	v_accvgpr_write_b32 a108, v28
	s_waitcnt lgkmcnt(0)
	v_pk_mul_f32 v[50:51], v[44:45], v[8:9] op_sel_hi:[1,0]
	v_mov_b32_e32 v8, v27
	v_pk_fma_f32 v[114:115], v[44:45], v[30:31], v[50:51] op_sel:[0,0,1] op_sel_hi:[1,1,0] neg_lo:[0,0,1] neg_hi:[0,0,1]
	v_pk_fma_f32 v[116:117], v[44:45], v[30:31], v[50:51] op_sel:[0,0,1] op_sel_hi:[1,0,0]
	v_pk_mul_f32 v[44:45], v[42:43], v[8:9] op_sel_hi:[1,0]
	v_mov_b32_e32 v115, v117
	v_pk_fma_f32 v[50:51], v[42:43], v[26:27], v[44:45] op_sel:[0,0,1] op_sel_hi:[1,1,0] neg_lo:[0,0,1] neg_hi:[0,0,1]
	v_pk_fma_f32 v[42:43], v[42:43], v[26:27], v[44:45] op_sel:[0,0,1] op_sel_hi:[1,0,0]
	v_pk_add_f32 v[110:111], v[108:109], v[114:115]
	v_mov_b32_e32 v51, v43
	ds_read2_b64 v[42:45], v184 offset1:63
	v_accvgpr_write_b32 a122, v31
	s_waitcnt lgkmcnt(0)
	v_pk_add_f32 v[48:49], v[42:43], v[46:47]
	s_nop 0
	v_pk_add_f32 v[118:119], v[48:49], v[50:51]
	v_pk_add_f32 v[48:49], v[46:47], v[50:51]
	v_pk_add_f32 v[46:47], v[46:47], v[50:51] neg_lo:[0,1] neg_hi:[0,1]
	v_pk_fma_f32 v[42:43], v[48:49], 0.5, v[42:43] op_sel_hi:[1,0,1] neg_lo:[1,0,0] neg_hi:[1,0,0]
	v_pk_mul_f32 v[46:47], v[46:47], s[2:3] op_sel_hi:[1,0]
	v_pk_fma_f32 v[110:111], v[110:111], 0.5, v[44:45] op_sel_hi:[1,0,1] neg_lo:[1,0,0] neg_hi:[1,0,0]
	v_pk_add_f32 v[128:129], v[42:43], v[46:47] op_sel:[0,1] op_sel_hi:[1,0]
	v_pk_add_f32 v[42:43], v[42:43], v[46:47] op_sel:[0,1] op_sel_hi:[1,0] neg_lo:[0,1] neg_hi:[0,1]
	ds_read2_b64 v[46:49], v121 offset0:122 offset1:185
	ds_read2_b64 v[50:53], v126 offset0:124 offset1:187
	ds_read2_b64 v[54:57], v184 offset0:126 offset1:189
	v_mov_b32_e32 v130, v128
	v_mov_b32_e32 v131, v43
	v_pk_add_f32 v[44:45], v[44:45], v[108:109]
	v_mov_b32_e32 v43, v129
	s_waitcnt lgkmcnt(0)
	; wave barrier
	s_waitcnt lgkmcnt(0)
	ds_write2_b64 v3, v[118:119], v[130:131] offset1:8
	ds_write_b64 v3, v[42:43] offset:128
	v_pk_add_f32 v[42:43], v[44:45], v[114:115]
	v_pk_add_f32 v[44:45], v[108:109], v[114:115] neg_lo:[0,1] neg_hi:[0,1]
	v_lshrrev_b32_e32 v3, 3, v64
	v_pk_mul_f32 v[44:45], v[44:45], s[2:3] op_sel_hi:[1,0]
	v_mul_u32_u24_e32 v3, 24, v3
	v_pk_add_f32 v[108:109], v[110:111], v[44:45] op_sel:[0,1] op_sel_hi:[1,0]
	v_pk_add_f32 v[44:45], v[110:111], v[44:45] op_sel:[0,1] op_sel_hi:[1,0] neg_lo:[0,1] neg_hi:[0,1]
	v_or_b32_e32 v0, v3, v0
	v_lshlrev_b32_e32 v0, 3, v0
	v_mov_b32_e32 v110, v108
	v_mov_b32_e32 v111, v45
	;; [unrolled: 1-line block ×3, first 2 shown]
	ds_write2_b64 v0, v[42:43], v[110:111] offset1:8
	v_accvgpr_write_b32 a126, v0
	ds_write_b64 v0, v[44:45] offset:128
	v_pk_add_f32 v[42:43], v[54:55], v[96:97]
	v_pk_add_f32 v[44:45], v[96:97], v[104:105]
	v_pk_add_f32 v[96:97], v[96:97], v[104:105] neg_lo:[0,1] neg_hi:[0,1]
	v_lshrrev_b32_e32 v0, 3, v84
	v_pk_fma_f32 v[44:45], v[44:45], 0.5, v[54:55] op_sel_hi:[1,0,1] neg_lo:[1,0,0] neg_hi:[1,0,0]
	v_pk_mul_f32 v[54:55], v[96:97], s[2:3] op_sel_hi:[1,0]
	v_mul_u32_u24_e32 v0, 24, v0
	v_pk_add_f32 v[96:97], v[44:45], v[54:55] op_sel:[0,1] op_sel_hi:[1,0]
	v_pk_add_f32 v[44:45], v[44:45], v[54:55] op_sel:[0,1] op_sel_hi:[1,0] neg_lo:[0,1] neg_hi:[0,1]
	v_or_b32_e32 v0, v0, v133
	v_pk_add_f32 v[42:43], v[42:43], v[104:105]
	v_lshlrev_b32_e32 v0, 3, v0
	v_mov_b32_e32 v54, v96
	v_mov_b32_e32 v55, v45
	ds_write2_b64 v0, v[42:43], v[54:55] offset1:8
	v_pk_add_f32 v[54:55], v[56:57], v[92:93]
	v_mov_b32_e32 v45, v97
	v_pk_add_f32 v[42:43], v[92:93], v[100:101]
	v_accvgpr_write_b32 a127, v0
	ds_write_b64 v0, v[44:45] offset:128
	v_pk_add_f32 v[44:45], v[54:55], v[100:101]
	v_pk_add_f32 v[54:55], v[92:93], v[100:101] neg_lo:[0,1] neg_hi:[0,1]
	v_lshrrev_b32_e32 v0, 3, v112
	v_pk_fma_f32 v[42:43], v[42:43], 0.5, v[56:57] op_sel_hi:[1,0,1] neg_lo:[1,0,0] neg_hi:[1,0,0]
	v_pk_mul_f32 v[54:55], v[54:55], s[2:3] op_sel_hi:[1,0]
	v_mul_u32_u24_e32 v0, 24, v0
	v_pk_add_f32 v[56:57], v[42:43], v[54:55] op_sel:[0,1] op_sel_hi:[1,0]
	v_pk_add_f32 v[42:43], v[42:43], v[54:55] op_sel:[0,1] op_sel_hi:[1,0] neg_lo:[0,1] neg_hi:[0,1]
	v_or_b32_e32 v0, v0, v132
	v_lshlrev_b32_e32 v0, 3, v0
	v_mov_b32_e32 v54, v56
	v_mov_b32_e32 v55, v43
	;; [unrolled: 1-line block ×3, first 2 shown]
	ds_write2_b64 v0, v[44:45], v[54:55] offset1:8
	v_accvgpr_write_b32 a138, v0
	ds_write_b64 v0, v[42:43] offset:128
	v_pk_add_f32 v[44:45], v[82:83], v[88:89]
	v_pk_add_f32 v[54:55], v[82:83], v[88:89] neg_lo:[0,1] neg_hi:[0,1]
	v_lshrrev_b32_e32 v0, 3, v68
	v_pk_add_f32 v[42:43], v[50:51], v[82:83]
	v_pk_fma_f32 v[44:45], v[44:45], 0.5, v[50:51] op_sel_hi:[1,0,1] neg_lo:[1,0,0] neg_hi:[1,0,0]
	v_pk_mul_f32 v[50:51], v[54:55], s[2:3] op_sel_hi:[1,0]
	v_mul_u32_u24_e32 v0, 24, v0
	v_pk_add_f32 v[54:55], v[44:45], v[50:51] op_sel:[0,1] op_sel_hi:[1,0]
	v_pk_add_f32 v[44:45], v[44:45], v[50:51] op_sel:[0,1] op_sel_hi:[1,0] neg_lo:[0,1] neg_hi:[0,1]
	v_or_b32_e32 v0, v0, v67
	v_pk_add_f32 v[42:43], v[42:43], v[88:89]
	v_lshlrev_b32_e32 v0, 3, v0
	v_mov_b32_e32 v50, v54
	v_mov_b32_e32 v51, v45
	ds_write2_b64 v0, v[42:43], v[50:51] offset1:8
	v_pk_add_f32 v[50:51], v[52:53], v[74:75]
	v_mov_b32_e32 v45, v55
	v_pk_add_f32 v[42:43], v[74:75], v[78:79]
	v_accvgpr_write_b32 a139, v0
	ds_write_b64 v0, v[44:45] offset:128
	v_pk_add_f32 v[44:45], v[50:51], v[78:79]
	v_pk_add_f32 v[50:51], v[74:75], v[78:79] neg_lo:[0,1] neg_hi:[0,1]
	v_lshrrev_b32_e32 v0, 3, v66
	v_pk_fma_f32 v[42:43], v[42:43], 0.5, v[52:53] op_sel_hi:[1,0,1] neg_lo:[1,0,0] neg_hi:[1,0,0]
	v_pk_mul_f32 v[50:51], v[50:51], s[2:3] op_sel_hi:[1,0]
	v_mul_u32_u24_e32 v0, 24, v0
	v_pk_add_f32 v[52:53], v[42:43], v[50:51] op_sel:[0,1] op_sel_hi:[1,0]
	v_pk_add_f32 v[42:43], v[42:43], v[50:51] op_sel:[0,1] op_sel_hi:[1,0] neg_lo:[0,1] neg_hi:[0,1]
	v_or_b32_e32 v0, v0, v69
	v_lshlrev_b32_e32 v0, 3, v0
	v_mov_b32_e32 v50, v52
	v_mov_b32_e32 v51, v43
	;; [unrolled: 1-line block ×3, first 2 shown]
	ds_write2_b64 v0, v[44:45], v[50:51] offset1:8
	v_accvgpr_write_b32 a140, v0
	ds_write_b64 v0, v[42:43] offset:128
	v_lshrrev_b32_e32 v0, 3, v70
	v_mul_u32_u24_e32 v0, 24, v0
	v_or_b32_e32 v0, v0, v71
	v_pk_add_f32 v[42:43], v[46:47], v[40:41]
	v_pk_add_f32 v[44:45], v[40:41], v[60:61]
	v_pk_add_f32 v[40:41], v[40:41], v[60:61] neg_lo:[0,1] neg_hi:[0,1]
	v_lshlrev_b32_e32 v3, 3, v0
	v_pk_add_f32 v[38:39], v[48:49], v[32:33]
	v_lshrrev_b32_e32 v0, 3, v72
	v_pk_add_f32 v[32:33], v[32:33], v[34:35] neg_lo:[0,1] neg_hi:[0,1]
	v_pk_fma_f32 v[44:45], v[44:45], 0.5, v[46:47] op_sel_hi:[1,0,1] neg_lo:[1,0,0] neg_hi:[1,0,0]
	v_pk_mul_f32 v[40:41], v[40:41], s[2:3] op_sel_hi:[1,0]
	v_pk_fma_f32 v[36:37], v[36:37], 0.5, v[48:49] op_sel_hi:[1,0,1] neg_lo:[1,0,0] neg_hi:[1,0,0]
	v_mul_u32_u24_e32 v0, 24, v0
	v_pk_mul_f32 v[32:33], v[32:33], s[2:3] op_sel_hi:[1,0]
	v_pk_add_f32 v[46:47], v[44:45], v[40:41] op_sel:[0,1] op_sel_hi:[1,0]
	v_pk_add_f32 v[40:41], v[44:45], v[40:41] op_sel:[0,1] op_sel_hi:[1,0] neg_lo:[0,1] neg_hi:[0,1]
	v_or_b32_e32 v0, v0, v73
	v_pk_add_f32 v[38:39], v[38:39], v[34:35]
	v_pk_add_f32 v[34:35], v[36:37], v[32:33] op_sel:[0,1] op_sel_hi:[1,0]
	v_pk_add_f32 v[32:33], v[36:37], v[32:33] op_sel:[0,1] op_sel_hi:[1,0] neg_lo:[0,1] neg_hi:[0,1]
	v_pk_add_f32 v[42:43], v[42:43], v[60:61]
	v_mov_b32_e32 v44, v46
	v_mov_b32_e32 v45, v41
	;; [unrolled: 1-line block ×3, first 2 shown]
	v_lshlrev_b32_e32 v0, 3, v0
	v_mov_b32_e32 v36, v34
	v_mov_b32_e32 v37, v33
	;; [unrolled: 1-line block ×3, first 2 shown]
	s_mov_b32 s3, 0xaaab
	ds_write2_b64 v3, v[42:43], v[44:45] offset1:8
	ds_write_b64 v3, v[40:41] offset:128
	ds_write2_b64 v0, v[38:39], v[36:37] offset1:8
	v_accvgpr_write_b32 a153, v0
	ds_write_b64 v0, v[32:33] offset:128
	v_mul_u32_u24_sdwa v0, v72, s3 dst_sel:DWORD dst_unused:UNUSED_PAD src0_sel:WORD_0 src1_sel:DWORD
	v_lshrrev_b32_e32 v0, 20, v0
	v_mul_u32_u24_sdwa v4, v70, s3 dst_sel:DWORD dst_unused:UNUSED_PAD src0_sel:WORD_0 src1_sel:DWORD
	v_accvgpr_write_b32 a146, v3
	v_mul_lo_u16_e32 v3, 24, v0
	v_lshrrev_b32_e32 v4, 20, v4
	v_sub_u16_e32 v3, v72, v3
	v_mul_lo_u16_e32 v7, 24, v4
	v_lshlrev_b16_e32 v32, 4, v3
	v_mov_b32_e32 v33, v165
	v_sub_u16_e32 v7, v70, v7
	v_lshl_add_u64 v[32:33], s[10:11], 0, v[32:33]
	v_lshlrev_b16_e32 v36, 4, v7
	v_mov_b32_e32 v37, v165
	s_waitcnt lgkmcnt(0)
	; wave barrier
	s_waitcnt lgkmcnt(0)
	global_load_dwordx4 v[32:35], v[32:33], off offset:176
	v_lshl_add_u64 v[36:37], s[10:11], 0, v[36:37]
	global_load_dwordx4 v[36:39], v[36:37], off offset:176
	ds_read2_b64 v[40:43], v120 offset0:114 offset1:177
	v_mul_u32_u24_sdwa v12, v66, s3 dst_sel:DWORD dst_unused:UNUSED_PAD src0_sel:WORD_0 src1_sel:DWORD
	v_lshrrev_b32_e32 v12, 20, v12
	v_mul_lo_u16_e32 v15, 24, v12
	v_sub_u16_e32 v15, v66, v15
	v_mov_b32_e32 v67, v165
	v_mov_b32_e32 v69, v165
	s_waitcnt vmcnt(1)
	v_mov_b32_e32 v8, v32
	s_waitcnt lgkmcnt(0)
	v_pk_mul_f32 v[44:45], v[42:43], v[32:33] op_sel:[0,1]
	v_accvgpr_write_b32 a168, v32
	v_pk_fma_f32 v[74:75], v[42:43], v[8:9], v[44:45] op_sel:[0,0,1] op_sel_hi:[1,1,0] neg_lo:[0,0,1] neg_hi:[0,0,1]
	v_pk_fma_f32 v[76:77], v[42:43], v[32:33], v[44:45] op_sel:[0,0,1] op_sel_hi:[1,0,0]
	s_waitcnt vmcnt(0)
	v_mov_b32_e32 v8, v36
	v_pk_mul_f32 v[42:43], v[40:41], v[36:37] op_sel:[0,1]
	v_accvgpr_write_b32 a166, v36
	v_pk_fma_f32 v[82:83], v[40:41], v[8:9], v[42:43] op_sel:[0,0,1] op_sel_hi:[1,1,0] neg_lo:[0,0,1] neg_hi:[0,0,1]
	v_pk_fma_f32 v[86:87], v[40:41], v[36:37], v[42:43] op_sel:[0,0,1] op_sel_hi:[1,0,0]
	ds_read2_b64 v[40:43], v122 offset0:106 offset1:169
	v_mov_b32_e32 v8, v35
	v_mov_b32_e32 v36, v35
	;; [unrolled: 1-line block ×4, first 2 shown]
	s_waitcnt lgkmcnt(0)
	v_pk_mul_f32 v[44:45], v[42:43], v[8:9] op_sel_hi:[1,0]
	v_mov_b32_e32 v8, v39
	v_pk_fma_f32 v[78:79], v[42:43], v[34:35], v[44:45] op_sel:[0,0,1] op_sel_hi:[1,1,0] neg_lo:[0,0,1] neg_hi:[0,0,1]
	v_pk_fma_f32 v[80:81], v[42:43], v[34:35], v[44:45] op_sel:[0,0,1] op_sel_hi:[1,0,0]
	v_pk_mul_f32 v[42:43], v[40:41], v[8:9] op_sel_hi:[1,0]
	v_mul_u32_u24_sdwa v8, v68, s3 dst_sel:DWORD dst_unused:UNUSED_PAD src0_sel:WORD_0 src1_sel:DWORD
	v_lshrrev_b32_e32 v8, 20, v8
	v_mul_lo_u16_e32 v11, 24, v8
	v_sub_u16_e32 v11, v68, v11
	v_pk_fma_f32 v[88:89], v[40:41], v[38:39], v[42:43] op_sel:[0,0,1] op_sel_hi:[1,1,0] neg_lo:[0,0,1] neg_hi:[0,0,1]
	v_pk_fma_f32 v[90:91], v[40:41], v[38:39], v[42:43] op_sel:[0,0,1] op_sel_hi:[1,0,0]
	v_lshlrev_b16_e32 v40, 4, v11
	v_mov_b32_e32 v41, v165
	v_lshl_add_u64 v[44:45], s[10:11], 0, v[40:41]
	v_lshlrev_b16_e32 v40, 4, v15
	v_lshl_add_u64 v[40:41], s[10:11], 0, v[40:41]
	global_load_dwordx4 v[40:43], v[40:41], off offset:176
	s_nop 0
	global_load_dwordx4 v[44:47], v[44:45], off offset:176
	ds_read2_b64 v[48:51], v124 offset0:116 offset1:179
	s_movk_i32 s3, 0xab
	v_mul_lo_u16_sdwa v20, v112, s3 dst_sel:DWORD dst_unused:UNUSED_PAD src0_sel:BYTE_0 src1_sel:DWORD
	v_lshrrev_b16_e32 v20, 12, v20
	v_mul_lo_u16_e32 v23, 24, v20
	v_sub_u16_e32 v23, v112, v23
	v_and_b32_e32 v23, 0xff, v23
	v_lshlrev_b32_e32 v24, 4, v23
	v_mul_lo_u16_sdwa v28, v64, s3 dst_sel:DWORD dst_unused:UNUSED_PAD src0_sel:BYTE_0 src1_sel:DWORD
	v_lshrrev_b16_e32 v28, 12, v28
	v_mul_lo_u16_e32 v31, 24, v28
	v_sub_u16_e32 v31, v64, v31
	v_and_b32_e32 v31, 0xff, v31
	v_lshlrev_b32_e32 v32, 4, v31
	v_mov_b32_e32 v89, v91
	v_pk_add_f32 v[86:87], v[82:83], v[88:89]
	v_pk_add_f32 v[90:91], v[82:83], v[88:89] neg_lo:[0,1] neg_hi:[0,1]
	v_mov_b32_e32 v79, v81
	v_pk_add_f32 v[76:77], v[74:75], v[78:79]
	v_accvgpr_write_b32 a172, v39
	s_waitcnt vmcnt(1)
	v_mov_b32_e32 v16, v40
	s_waitcnt lgkmcnt(0)
	v_pk_mul_f32 v[52:53], v[50:51], v[40:41] op_sel:[0,1]
	v_accvgpr_write_b32 a174, v40
	v_pk_fma_f32 v[92:93], v[50:51], v[16:17], v[52:53] op_sel:[0,0,1] op_sel_hi:[1,1,0] neg_lo:[0,0,1] neg_hi:[0,0,1]
	v_pk_fma_f32 v[94:95], v[50:51], v[40:41], v[52:53] op_sel:[0,0,1] op_sel_hi:[1,0,0]
	s_waitcnt vmcnt(0)
	v_mov_b32_e32 v16, v44
	v_pk_mul_f32 v[50:51], v[48:49], v[44:45] op_sel:[0,1]
	v_mov_b32_e32 v93, v95
	v_pk_fma_f32 v[110:111], v[48:49], v[16:17], v[50:51] op_sel:[0,0,1] op_sel_hi:[1,1,0] neg_lo:[0,0,1] neg_hi:[0,0,1]
	v_pk_fma_f32 v[118:119], v[48:49], v[44:45], v[50:51] op_sel:[0,0,1] op_sel_hi:[1,0,0]
	ds_read2_b64 v[48:51], v85 offset0:108 offset1:171
	v_mov_b32_e32 v16, v43
	v_mov_b32_e32 v111, v119
	v_accvgpr_write_b32 a170, v44
	v_mov_b32_e32 v44, v43
	s_waitcnt lgkmcnt(0)
	v_pk_mul_f32 v[52:53], v[50:51], v[16:17] op_sel_hi:[1,0]
	v_mov_b32_e32 v16, v47
	v_pk_fma_f32 v[96:97], v[50:51], v[42:43], v[52:53] op_sel:[0,0,1] op_sel_hi:[1,1,0] neg_lo:[0,0,1] neg_hi:[0,0,1]
	v_pk_fma_f32 v[128:129], v[50:51], v[42:43], v[52:53] op_sel:[0,0,1] op_sel_hi:[1,0,0]
	v_pk_mul_f32 v[50:51], v[48:49], v[16:17] op_sel_hi:[1,0]
	v_mul_lo_u16_sdwa v16, v84, s3 dst_sel:DWORD dst_unused:UNUSED_PAD src0_sel:BYTE_0 src1_sel:DWORD
	v_lshrrev_b16_e32 v16, 12, v16
	v_mul_lo_u16_e32 v19, 24, v16
	v_sub_u16_e32 v19, v84, v19
	v_and_b32_e32 v19, 0xff, v19
	v_pk_fma_f32 v[130:131], v[48:49], v[46:47], v[50:51] op_sel:[0,0,1] op_sel_hi:[1,1,0] neg_lo:[0,0,1] neg_hi:[0,0,1]
	v_pk_fma_f32 v[132:133], v[48:49], v[46:47], v[50:51] op_sel:[0,0,1] op_sel_hi:[1,0,0]
	v_lshlrev_b32_e32 v27, 4, v19
	global_load_dwordx4 v[52:55], v24, s[10:11] offset:176
	global_load_dwordx4 v[48:51], v27, s[10:11] offset:176
	ds_read2_b64 v[56:59], v123 offset0:118 offset1:181
	v_mul_u32_u24_e32 v16, 0x48, v16
	v_add_lshl_u32 v16, v16, v19, 3
	v_accvgpr_write_b32 a198, v16
	v_mov_b32_e32 v131, v133
	v_mov_b32_e32 v97, v129
	v_pk_add_f32 v[94:95], v[92:93], v[96:97]
	v_accvgpr_write_b32 a178, v47
	s_waitcnt vmcnt(1)
	v_mov_b32_e32 v24, v52
	s_waitcnt lgkmcnt(0)
	v_pk_mul_f32 v[60:61], v[58:59], v[52:53] op_sel:[0,1]
	v_accvgpr_write_b32 a182, v52
	v_pk_fma_f32 v[134:135], v[58:59], v[24:25], v[60:61] op_sel:[0,0,1] op_sel_hi:[1,1,0] neg_lo:[0,0,1] neg_hi:[0,0,1]
	v_pk_fma_f32 v[136:137], v[58:59], v[52:53], v[60:61] op_sel:[0,0,1] op_sel_hi:[1,0,0]
	s_waitcnt vmcnt(0)
	v_mov_b32_e32 v24, v48
	v_pk_mul_f32 v[58:59], v[56:57], v[48:49] op_sel:[0,1]
	v_mov_b32_e32 v135, v137
	v_pk_fma_f32 v[138:139], v[56:57], v[24:25], v[58:59] op_sel:[0,0,1] op_sel_hi:[1,1,0] neg_lo:[0,0,1] neg_hi:[0,0,1]
	v_pk_fma_f32 v[140:141], v[56:57], v[48:49], v[58:59] op_sel:[0,0,1] op_sel_hi:[1,0,0]
	ds_read2_b64 v[56:59], v113 offset0:110 offset1:173
	v_mov_b32_e32 v24, v55
	v_mov_b32_e32 v139, v141
	v_accvgpr_write_b32 a180, v48
	v_mov_b32_e32 v48, v55
	s_waitcnt lgkmcnt(0)
	v_pk_mul_f32 v[60:61], v[58:59], v[24:25] op_sel_hi:[1,0]
	v_mov_b32_e32 v24, v51
	v_pk_fma_f32 v[142:143], v[58:59], v[54:55], v[60:61] op_sel:[0,0,1] op_sel_hi:[1,1,0] neg_lo:[0,0,1] neg_hi:[0,0,1]
	v_pk_fma_f32 v[144:145], v[58:59], v[54:55], v[60:61] op_sel:[0,0,1] op_sel_hi:[1,0,0]
	v_pk_mul_f32 v[58:59], v[56:57], v[24:25] op_sel_hi:[1,0]
	v_mul_lo_u16_sdwa v24, v204, s3 dst_sel:DWORD dst_unused:UNUSED_PAD src0_sel:BYTE_0 src1_sel:DWORD
	v_lshrrev_b16_e32 v24, 12, v24
	v_mul_lo_u16_e32 v27, 24, v24
	v_sub_u16_e32 v27, v204, v27
	v_and_b32_e32 v27, 0xff, v27
	v_pk_fma_f32 v[146:147], v[56:57], v[50:51], v[58:59] op_sel:[0,0,1] op_sel_hi:[1,1,0] neg_lo:[0,0,1] neg_hi:[0,0,1]
	v_pk_fma_f32 v[148:149], v[56:57], v[50:51], v[58:59] op_sel:[0,0,1] op_sel_hi:[1,0,0]
	v_lshlrev_b32_e32 v35, 4, v27
	global_load_dwordx4 v[60:63], v32, s[10:11] offset:176
	global_load_dwordx4 v[56:59], v35, s[10:11] offset:176
	ds_read2_b64 v[98:101], v127 offset0:120 offset1:183
	v_mul_lo_u16_e32 v24, 0x48, v24
	v_and_b32_e32 v24, 0xf8, v24
	v_add_lshl_u32 v24, v24, v27, 3
	v_accvgpr_write_b32 a196, v24
	v_mov_b32_e32 v147, v149
	v_mov_b32_e32 v143, v145
	v_accvgpr_write_b32 a188, v51
	s_waitcnt vmcnt(1)
	v_mov_b32_e32 v32, v60
	s_waitcnt lgkmcnt(0)
	v_pk_mul_f32 v[102:103], v[100:101], v[60:61] op_sel:[0,1]
	v_accvgpr_write_b32 a190, v60
	v_pk_fma_f32 v[150:151], v[100:101], v[32:33], v[102:103] op_sel:[0,0,1] op_sel_hi:[1,1,0] neg_lo:[0,0,1] neg_hi:[0,0,1]
	v_pk_fma_f32 v[152:153], v[100:101], v[60:61], v[102:103] op_sel:[0,0,1] op_sel_hi:[1,0,0]
	s_waitcnt vmcnt(0)
	v_mov_b32_e32 v32, v56
	v_pk_mul_f32 v[100:101], v[98:99], v[56:57] op_sel:[0,1]
	v_mov_b32_e32 v151, v153
	v_pk_fma_f32 v[102:103], v[98:99], v[32:33], v[100:101] op_sel:[0,0,1] op_sel_hi:[1,1,0] neg_lo:[0,0,1] neg_hi:[0,0,1]
	v_pk_fma_f32 v[104:105], v[98:99], v[56:57], v[100:101] op_sel:[0,0,1] op_sel_hi:[1,0,0]
	ds_read2_b64 v[98:101], v125 offset0:112 offset1:175
	v_mov_b32_e32 v32, v63
	v_mov_b32_e32 v103, v105
	v_accvgpr_write_b32 a186, v56
	v_mov_b32_e32 v56, v63
	s_waitcnt lgkmcnt(0)
	v_pk_mul_f32 v[106:107], v[100:101], v[32:33] op_sel_hi:[1,0]
	v_mov_b32_e32 v32, v59
	v_pk_fma_f32 v[154:155], v[100:101], v[62:63], v[106:107] op_sel:[0,0,1] op_sel_hi:[1,1,0] neg_lo:[0,0,1] neg_hi:[0,0,1]
	v_pk_fma_f32 v[156:157], v[100:101], v[62:63], v[106:107] op_sel:[0,0,1] op_sel_hi:[1,0,0]
	v_pk_mul_f32 v[100:101], v[98:99], v[32:33] op_sel_hi:[1,0]
	v_mov_b32_e32 v155, v157
	v_pk_fma_f32 v[106:107], v[98:99], v[58:59], v[100:101] op_sel:[0,0,1] op_sel_hi:[1,1,0] neg_lo:[0,0,1] neg_hi:[0,0,1]
	v_pk_fma_f32 v[98:99], v[98:99], v[58:59], v[100:101] op_sel:[0,0,1] op_sel_hi:[1,0,0]
	v_pk_add_f32 v[152:153], v[150:151], v[154:155]
	v_mov_b32_e32 v107, v99
	ds_read2_b64 v[98:101], v184 offset1:63
	v_accvgpr_write_b32 a194, v59
	s_waitcnt lgkmcnt(0)
	v_pk_add_f32 v[104:105], v[98:99], v[102:103]
	s_nop 0
	v_pk_add_f32 v[158:159], v[104:105], v[106:107]
	v_pk_add_f32 v[104:105], v[102:103], v[106:107]
	v_pk_add_f32 v[102:103], v[102:103], v[106:107] neg_lo:[0,1] neg_hi:[0,1]
	v_pk_fma_f32 v[98:99], v[104:105], 0.5, v[98:99] op_sel_hi:[1,0,1] neg_lo:[1,0,0] neg_hi:[1,0,0]
	v_pk_mul_f32 v[102:103], v[102:103], s[2:3] op_sel_hi:[1,0]
	v_pk_fma_f32 v[152:153], v[152:153], 0.5, v[100:101] op_sel_hi:[1,0,1] neg_lo:[1,0,0] neg_hi:[1,0,0]
	v_pk_add_f32 v[160:161], v[98:99], v[102:103] op_sel:[0,1] op_sel_hi:[1,0]
	v_pk_add_f32 v[98:99], v[98:99], v[102:103] op_sel:[0,1] op_sel_hi:[1,0] neg_lo:[0,1] neg_hi:[0,1]
	ds_read2_b64 v[102:105], v121 offset0:122 offset1:185
	ds_read2_b64 v[106:109], v126 offset0:124 offset1:187
	;; [unrolled: 1-line block ×3, first 2 shown]
	v_mov_b32_e32 v163, v99
	v_pk_add_f32 v[100:101], v[100:101], v[150:151]
	v_mov_b32_e32 v99, v161
	s_waitcnt lgkmcnt(0)
	; wave barrier
	s_waitcnt lgkmcnt(0)
	ds_write_b64 v24, v[98:99] offset:384
	v_pk_add_f32 v[98:99], v[100:101], v[154:155]
	v_pk_add_f32 v[100:101], v[150:151], v[154:155] neg_lo:[0,1] neg_hi:[0,1]
	v_mov_b32_e32 v162, v160
	v_pk_mul_f32 v[100:101], v[100:101], s[2:3] op_sel_hi:[1,0]
	ds_write2_b64 v24, v[158:159], v[162:163] offset1:24
	v_pk_add_f32 v[150:151], v[152:153], v[100:101] op_sel:[0,1] op_sel_hi:[1,0]
	v_pk_add_f32 v[100:101], v[152:153], v[100:101] op_sel:[0,1] op_sel_hi:[1,0] neg_lo:[0,1] neg_hi:[0,1]
	v_mul_u32_u24_e32 v24, 0x48, v28
	v_add_lshl_u32 v24, v24, v31, 3
	v_mov_b32_e32 v152, v150
	v_mov_b32_e32 v153, v101
	v_mov_b32_e32 v101, v151
	ds_write2_b64 v24, v[98:99], v[152:153] offset1:24
	ds_write_b64 v24, v[100:101] offset:384
	v_pk_add_f32 v[98:99], v[114:115], v[138:139]
	v_pk_add_f32 v[100:101], v[138:139], v[146:147]
	v_pk_add_f32 v[138:139], v[138:139], v[146:147] neg_lo:[0,1] neg_hi:[0,1]
	v_pk_fma_f32 v[100:101], v[100:101], 0.5, v[114:115] op_sel_hi:[1,0,1] neg_lo:[1,0,0] neg_hi:[1,0,0]
	v_pk_mul_f32 v[114:115], v[138:139], s[2:3] op_sel_hi:[1,0]
	v_pk_add_f32 v[98:99], v[98:99], v[146:147]
	v_pk_add_f32 v[138:139], v[100:101], v[114:115] op_sel:[0,1] op_sel_hi:[1,0]
	v_pk_add_f32 v[100:101], v[100:101], v[114:115] op_sel:[0,1] op_sel_hi:[1,0] neg_lo:[0,1] neg_hi:[0,1]
	v_mov_b32_e32 v114, v138
	v_mov_b32_e32 v115, v101
	ds_write2_b64 v16, v[98:99], v[114:115] offset1:24
	v_pk_add_f32 v[114:115], v[116:117], v[134:135]
	v_mov_b32_e32 v101, v139
	v_pk_add_f32 v[98:99], v[134:135], v[142:143]
	ds_write_b64 v16, v[100:101] offset:384
	v_pk_add_f32 v[100:101], v[114:115], v[142:143]
	v_pk_add_f32 v[114:115], v[134:135], v[142:143] neg_lo:[0,1] neg_hi:[0,1]
	v_pk_fma_f32 v[98:99], v[98:99], 0.5, v[116:117] op_sel_hi:[1,0,1] neg_lo:[1,0,0] neg_hi:[1,0,0]
	v_pk_mul_f32 v[114:115], v[114:115], s[2:3] op_sel_hi:[1,0]
	v_mul_u32_u24_e32 v16, 0x48, v20
	v_pk_add_f32 v[116:117], v[98:99], v[114:115] op_sel:[0,1] op_sel_hi:[1,0]
	v_pk_add_f32 v[98:99], v[98:99], v[114:115] op_sel:[0,1] op_sel_hi:[1,0] neg_lo:[0,1] neg_hi:[0,1]
	v_add_lshl_u32 v16, v16, v23, 3
	v_mov_b32_e32 v114, v116
	v_mov_b32_e32 v115, v99
	ds_write2_b64 v16, v[100:101], v[114:115] offset1:24
	v_pk_add_f32 v[100:101], v[110:111], v[130:131]
	v_pk_add_f32 v[114:115], v[110:111], v[130:131] neg_lo:[0,1] neg_hi:[0,1]
	v_pk_fma_f32 v[100:101], v[100:101], 0.5, v[106:107] op_sel_hi:[1,0,1] neg_lo:[1,0,0] neg_hi:[1,0,0]
	v_pk_mul_f32 v[114:115], v[114:115], s[2:3] op_sel_hi:[1,0]
	v_mov_b32_e32 v99, v117
	s_movk_i32 s3, 0x48
	v_pk_add_f32 v[118:119], v[100:101], v[114:115] op_sel:[0,1] op_sel_hi:[1,0] neg_lo:[0,1] neg_hi:[0,1]
	v_pk_add_f32 v[100:101], v[100:101], v[114:115] op_sel:[0,1] op_sel_hi:[1,0]
	ds_write_b64 v16, v[98:99] offset:384
	v_pk_add_f32 v[98:99], v[106:107], v[110:111]
	v_mad_legacy_u16 v8, v8, s3, v11
	v_pk_add_f32 v[98:99], v[98:99], v[130:131]
	v_lshlrev_b32_e32 v8, 3, v8
	v_mov_b32_e32 v106, v100
	v_mov_b32_e32 v107, v119
	ds_write2_b64 v8, v[98:99], v[106:107] offset1:24
	v_pk_add_f32 v[98:99], v[108:109], v[92:93]
	v_pk_add_f32 v[92:93], v[92:93], v[96:97] neg_lo:[0,1] neg_hi:[0,1]
	v_pk_fma_f32 v[94:95], v[94:95], 0.5, v[108:109] op_sel_hi:[1,0,1] neg_lo:[1,0,0] neg_hi:[1,0,0]
	v_pk_mul_f32 v[92:93], v[92:93], s[2:3] op_sel_hi:[1,0]
	v_mov_b32_e32 v119, v101
	v_pk_add_f32 v[106:107], v[94:95], v[92:93] op_sel:[0,1] op_sel_hi:[1,0] neg_lo:[0,1] neg_hi:[0,1]
	v_pk_add_f32 v[92:93], v[94:95], v[92:93] op_sel:[0,1] op_sel_hi:[1,0]
	v_accvgpr_write_b32 a200, v8
	ds_write_b64 v8, v[118:119] offset:384
	v_mad_legacy_u16 v8, v12, s3, v15
	v_pk_add_f32 v[94:95], v[98:99], v[96:97]
	v_lshlrev_b32_e32 v8, 3, v8
	v_mov_b32_e32 v96, v92
	v_mov_b32_e32 v97, v107
	v_pk_fma_f32 v[86:87], v[86:87], 0.5, v[102:103] op_sel_hi:[1,0,1] neg_lo:[1,0,0] neg_hi:[1,0,0]
	v_pk_mul_f32 v[90:91], v[90:91], s[2:3] op_sel_hi:[1,0]
	ds_write2_b64 v8, v[94:95], v[96:97] offset1:24
	v_pk_add_f32 v[94:95], v[86:87], v[90:91] op_sel:[0,1] op_sel_hi:[1,0] neg_lo:[0,1] neg_hi:[0,1]
	v_pk_add_f32 v[86:87], v[86:87], v[90:91] op_sel:[0,1] op_sel_hi:[1,0]
	v_pk_add_f32 v[82:83], v[102:103], v[82:83]
	v_mad_legacy_u16 v4, v4, s3, v7
	v_pk_add_f32 v[80:81], v[104:105], v[74:75]
	v_pk_add_f32 v[74:75], v[74:75], v[78:79] neg_lo:[0,1] neg_hi:[0,1]
	v_mov_b32_e32 v107, v93
	v_pk_add_f32 v[82:83], v[82:83], v[88:89]
	v_lshlrev_b32_e32 v4, 3, v4
	v_mov_b32_e32 v88, v86
	v_mov_b32_e32 v89, v95
	v_pk_mul_f32 v[74:75], v[74:75], s[2:3] op_sel_hi:[1,0]
	v_mov_b32_e32 v95, v87
	v_mad_legacy_u16 v0, v0, s3, v3
	s_mov_b32 s3, 0xe38f
	ds_write_b64 v8, v[106:107] offset:384
	ds_write2_b64 v4, v[82:83], v[88:89] offset1:24
	v_accvgpr_write_b32 a202, v4
	ds_write_b64 v4, v[94:95] offset:384
	v_mul_u32_u24_sdwa v4, v72, s3 dst_sel:DWORD dst_unused:UNUSED_PAD src0_sel:WORD_0 src1_sel:DWORD
	v_lshrrev_b32_e32 v4, 22, v4
	v_mul_u32_u24_sdwa v7, v66, s3 dst_sel:DWORD dst_unused:UNUSED_PAD src0_sel:WORD_0 src1_sel:DWORD
	v_mul_lo_u16_e32 v4, 0x48, v4
	v_lshrrev_b32_e32 v7, 22, v7
	v_accvgpr_write_b32 a201, v8
	v_pk_fma_f32 v[76:77], v[76:77], 0.5, v[104:105] op_sel_hi:[1,0,1] neg_lo:[1,0,0] neg_hi:[1,0,0]
	v_sub_u16_e32 v4, v72, v4
	v_mul_lo_u16_e32 v8, 0x48, v7
	v_pk_add_f32 v[82:83], v[76:77], v[74:75] op_sel:[0,1] op_sel_hi:[1,0] neg_lo:[0,1] neg_hi:[0,1]
	v_pk_add_f32 v[74:75], v[76:77], v[74:75] op_sel:[0,1] op_sel_hi:[1,0]
	v_sub_u16_e32 v8, v66, v8
	v_lshlrev_b16_e32 v66, 4, v4
	v_pk_add_f32 v[76:77], v[80:81], v[78:79]
	v_lshlrev_b32_e32 v0, 3, v0
	v_mov_b32_e32 v78, v74
	v_mov_b32_e32 v79, v83
	;; [unrolled: 1-line block ×3, first 2 shown]
	v_lshl_add_u64 v[66:67], s[10:11], 0, v[66:67]
	ds_write2_b64 v0, v[76:77], v[78:79] offset1:24
	ds_write_b64 v0, v[82:83] offset:384
	s_waitcnt lgkmcnt(0)
	; wave barrier
	s_waitcnt lgkmcnt(0)
	global_load_dwordx4 v[80:83], v[66:67], off offset:560
	v_accvgpr_write_b32 a203, v0
	v_mul_u32_u24_sdwa v0, v70, s3 dst_sel:DWORD dst_unused:UNUSED_PAD src0_sel:WORD_0 src1_sel:DWORD
	v_lshrrev_b32_e32 v0, 22, v0
	v_mul_lo_u16_e32 v3, 0x48, v0
	v_sub_u16_e32 v3, v70, v3
	ds_read2_b64 v[70:73], v120 offset0:114 offset1:177
	v_lshl_add_u64 v[76:77], v[204:205], 0, -9
	v_cndmask_b32_e32 v97, v77, v65, vcc
	v_cndmask_b32_e32 v96, v76, v64, vcc
	v_lshlrev_b16_e32 v64, 4, v3
	v_mov_b32_e32 v65, v165
	v_lshl_add_u64 v[64:65], s[10:11], 0, v[64:65]
	v_accvgpr_write_b32 a199, v16
	v_mul_u32_u24_sdwa v11, v68, s3 dst_sel:DWORD dst_unused:UNUSED_PAD src0_sel:WORD_0 src1_sel:DWORD
	v_mov_b32_e32 v15, 57
	v_lshrrev_b32_e32 v11, 22, v11
	v_accvgpr_write_b32 a197, v24
	v_cmp_lt_u16_e32 vcc, 8, v204
	v_lshlrev_b32_e32 v205, 3, v4
	s_waitcnt vmcnt(0) lgkmcnt(0)
	v_pk_mul_f32 v[66:67], v[72:73], v[80:81] op_sel:[0,1]
	s_nop 0
	v_pk_fma_f32 v[100:101], v[72:73], v[80:81], v[66:67] op_sel:[0,0,1] op_sel_hi:[1,0,0]
	v_pk_fma_f32 v[98:99], v[72:73], v[80:81], v[66:67] op_sel:[0,0,1] op_sel_hi:[1,0,0] neg_lo:[0,0,1] neg_hi:[0,0,1]
	v_lshlrev_b16_e32 v66, 4, v8
	v_mov_b32_e32 v67, v165
	v_lshl_add_u64 v[66:67], s[10:11], 0, v[66:67]
	global_load_dwordx4 v[72:75], v[64:65], off offset:560
	s_nop 0
	global_load_dwordx4 v[64:67], v[66:67], off offset:560
	ds_read2_b64 v[86:89], v124 offset0:116 offset1:179
	v_mov_b32_e32 v99, v101
	s_waitcnt vmcnt(1)
	v_mov_b32_e32 v12, v72
	v_pk_mul_f32 v[76:77], v[70:71], v[72:73] op_sel:[0,1]
	s_waitcnt vmcnt(0)
	v_mov_b32_e32 v16, v64
	v_pk_fma_f32 v[106:107], v[70:71], v[12:13], v[76:77] op_sel:[0,0,1] op_sel_hi:[1,1,0] neg_lo:[0,0,1] neg_hi:[0,0,1]
	v_pk_fma_f32 v[110:111], v[70:71], v[72:73], v[76:77] op_sel:[0,0,1] op_sel_hi:[1,0,0]
	ds_read2_b64 v[76:79], v122 offset0:106 offset1:169
	v_mov_b32_e32 v12, v83
	v_mov_b32_e32 v107, v111
	v_accvgpr_write_b32 a206, v72
	v_mov_b32_e32 v72, v83
	s_waitcnt lgkmcnt(0)
	v_pk_mul_f32 v[70:71], v[78:79], v[12:13] op_sel_hi:[1,0]
	v_mov_b32_e32 v12, v75
	v_pk_fma_f32 v[104:105], v[78:79], v[82:83], v[70:71] op_sel:[0,0,1] op_sel_hi:[1,0,0]
	v_pk_fma_f32 v[102:103], v[78:79], v[82:83], v[70:71] op_sel:[0,0,1] op_sel_hi:[1,0,0] neg_lo:[0,0,1] neg_hi:[0,0,1]
	v_pk_mul_f32 v[70:71], v[76:77], v[12:13] op_sel_hi:[1,0]
	v_mul_lo_u16_e32 v12, 0x48, v11
	v_pk_fma_f32 v[108:109], v[76:77], v[74:75], v[70:71] op_sel:[0,0,1] op_sel_hi:[1,1,0] neg_lo:[0,0,1] neg_hi:[0,0,1]
	v_pk_fma_f32 v[114:115], v[76:77], v[74:75], v[70:71] op_sel:[0,0,1] op_sel_hi:[1,0,0]
	v_pk_mul_f32 v[70:71], v[88:89], v[64:65] op_sel:[0,1]
	v_sub_u16_e32 v12, v68, v12
	v_pk_fma_f32 v[116:117], v[88:89], v[16:17], v[70:71] op_sel:[0,0,1] op_sel_hi:[1,1,0] neg_lo:[0,0,1] neg_hi:[0,0,1]
	v_mul_lo_u16_sdwa v16, v112, v15 dst_sel:DWORD dst_unused:UNUSED_PAD src0_sel:BYTE_0 src1_sel:DWORD
	v_lshrrev_b16_e32 v16, 12, v16
	v_mul_lo_u16_e32 v19, 0x48, v16
	v_lshlrev_b16_e32 v68, 4, v12
	v_sub_u16_e32 v19, v112, v19
	v_lshl_add_u64 v[68:69], s[10:11], 0, v[68:69]
	v_and_b32_e32 v19, 0xff, v19
	v_pk_fma_f32 v[118:119], v[88:89], v[64:65], v[70:71] op_sel:[0,0,1] op_sel_hi:[1,0,0]
	v_lshlrev_b32_e32 v20, 4, v19
	global_load_dwordx4 v[76:79], v[68:69], off offset:560
	s_nop 0
	global_load_dwordx4 v[68:71], v20, s[10:11] offset:560
	ds_read2_b64 v[92:95], v123 offset0:118 offset1:181
	v_mul_lo_u16_sdwa v15, v84, v15 dst_sel:DWORD dst_unused:UNUSED_PAD src0_sel:BYTE_0 src1_sel:DWORD
	v_lshrrev_b16_e32 v15, 12, v15
	v_mov_b32_e32 v117, v119
	v_mov_b32_e32 v109, v115
	v_pk_add_f32 v[110:111], v[106:107], v[108:109]
	v_pk_add_f32 v[114:115], v[106:107], v[108:109] neg_lo:[0,1] neg_hi:[0,1]
	v_mov_b32_e32 v103, v105
	v_accvgpr_write_b32 a208, v75
	v_accvgpr_write_b32 a204, v64
	s_waitcnt vmcnt(1)
	v_mov_b32_e32 v20, v76
	v_pk_mul_f32 v[88:89], v[86:87], v[76:77] op_sel:[0,1]
	s_waitcnt vmcnt(0)
	v_mov_b32_e32 v24, v68
	v_pk_fma_f32 v[140:141], v[86:87], v[20:21], v[88:89] op_sel:[0,0,1] op_sel_hi:[1,1,0] neg_lo:[0,0,1] neg_hi:[0,0,1]
	v_pk_fma_f32 v[142:143], v[86:87], v[76:77], v[88:89] op_sel:[0,0,1] op_sel_hi:[1,0,0]
	ds_read2_b64 v[86:89], v85 offset0:108 offset1:171
	v_mov_b32_e32 v20, v67
	v_mov_b32_e32 v141, v143
	v_accvgpr_write_b32 a212, v76
	v_mov_b32_e32 v76, v67
	s_waitcnt lgkmcnt(0)
	v_pk_mul_f32 v[90:91], v[88:89], v[20:21] op_sel_hi:[1,0]
	v_mov_b32_e32 v20, v79
	v_pk_fma_f32 v[144:145], v[88:89], v[66:67], v[90:91] op_sel:[0,0,1] op_sel_hi:[1,1,0] neg_lo:[0,0,1] neg_hi:[0,0,1]
	v_pk_fma_f32 v[146:147], v[88:89], v[66:67], v[90:91] op_sel:[0,0,1] op_sel_hi:[1,0,0]
	v_pk_mul_f32 v[88:89], v[86:87], v[20:21] op_sel_hi:[1,0]
	v_mul_lo_u16_e32 v20, 0x48, v15
	v_sub_u16_e32 v20, v84, v20
	v_pk_mul_f32 v[84:85], v[94:95], v[68:69] op_sel:[0,1]
	v_and_b32_e32 v20, 0xff, v20
	v_pk_fma_f32 v[152:153], v[94:95], v[24:25], v[84:85] op_sel:[0,0,1] op_sel_hi:[1,1,0] neg_lo:[0,0,1] neg_hi:[0,0,1]
	v_pk_fma_f32 v[154:155], v[94:95], v[68:69], v[84:85] op_sel:[0,0,1] op_sel_hi:[1,0,0]
	v_lshl_add_u64 v[84:85], v[96:97], 4, s[10:11]
	v_pk_fma_f32 v[148:149], v[86:87], v[78:79], v[88:89] op_sel:[0,0,1] op_sel_hi:[1,1,0] neg_lo:[0,0,1] neg_hi:[0,0,1]
	v_pk_fma_f32 v[150:151], v[86:87], v[78:79], v[88:89] op_sel:[0,0,1] op_sel_hi:[1,0,0]
	v_lshlrev_b32_e32 v23, 4, v20
	global_load_dwordx4 v[84:87], v[84:85], off offset:560
	s_nop 0
	global_load_dwordx4 v[88:91], v23, s[10:11] offset:560
	v_mov_b32_e32 v23, 0xd8
	v_cndmask_b32_e32 v23, 0, v23, vcc
	v_add_lshl_u32 v23, v96, v23, 3
	v_mul_u32_u24_e32 v15, 0xd8, v15
	v_add_lshl_u32 v15, v15, v20, 3
	v_mov_b32_e32 v153, v155
	v_accvgpr_write_b32 a231, v15
	v_mov_b32_e32 v149, v151
	v_mov_b32_e32 v145, v147
	v_accvgpr_write_b32 a214, v79
	v_accvgpr_write_b32 a210, v68
	;; [unrolled: 1-line block ×3, first 2 shown]
	v_cmp_gt_u16_e32 vcc, 27, v204
	s_waitcnt vmcnt(1)
	v_accvgpr_write_b32 a224, v84
	s_waitcnt vmcnt(0)
	v_mov_b32_e32 v24, v88
	v_pk_mul_f32 v[94:95], v[92:93], v[88:89] op_sel:[0,1]
	v_accvgpr_write_b32 a220, v88
	v_pk_fma_f32 v[156:157], v[92:93], v[24:25], v[94:95] op_sel:[0,0,1] op_sel_hi:[1,1,0] neg_lo:[0,0,1] neg_hi:[0,0,1]
	v_pk_fma_f32 v[158:159], v[92:93], v[88:89], v[94:95] op_sel:[0,0,1] op_sel_hi:[1,0,0]
	ds_read2_b64 v[92:95], v113 offset0:110 offset1:173
	v_mov_b32_e32 v24, v71
	v_mov_b32_e32 v157, v159
	;; [unrolled: 1-line block ×3, first 2 shown]
	v_accvgpr_write_b32 a222, v91
	s_waitcnt lgkmcnt(0)
	v_pk_mul_f32 v[128:129], v[94:95], v[24:25] op_sel_hi:[1,0]
	v_mov_b32_e32 v24, v91
	v_pk_fma_f32 v[160:161], v[94:95], v[70:71], v[128:129] op_sel:[0,0,1] op_sel_hi:[1,1,0] neg_lo:[0,0,1] neg_hi:[0,0,1]
	v_pk_fma_f32 v[162:163], v[94:95], v[70:71], v[128:129] op_sel:[0,0,1] op_sel_hi:[1,0,0]
	v_pk_mul_f32 v[94:95], v[92:93], v[24:25] op_sel_hi:[1,0]
	ds_read2_b64 v[128:131], v127 offset0:120 offset1:183
	v_pk_fma_f32 v[164:165], v[92:93], v[90:91], v[94:95] op_sel:[0,0,1] op_sel_hi:[1,1,0] neg_lo:[0,0,1] neg_hi:[0,0,1]
	v_pk_fma_f32 v[166:167], v[92:93], v[90:91], v[94:95] op_sel:[0,0,1] op_sel_hi:[1,0,0]
	global_load_dwordx4 v[92:95], v168, s[10:11] offset:560
	v_mov_b32_e32 v165, v167
	v_mov_b32_e32 v161, v163
	v_accvgpr_write_b32 a228, v87
	s_waitcnt vmcnt(0)
	v_mov_b32_e32 v24, v92
	s_waitcnt lgkmcnt(0)
	v_pk_mul_f32 v[132:133], v[128:129], v[92:93] op_sel:[0,1]
	v_mov_b32_e32 v64, v92
	v_pk_fma_f32 v[134:135], v[128:129], v[24:25], v[132:133] op_sel:[0,0,1] op_sel_hi:[1,1,0] neg_lo:[0,0,1] neg_hi:[0,0,1]
	v_pk_fma_f32 v[132:133], v[128:129], v[92:93], v[132:133] op_sel:[0,0,1] op_sel_hi:[1,0,0]
	v_mov_b32_e32 v24, v84
	v_pk_mul_f32 v[128:129], v[130:131], v[84:85] op_sel:[0,1]
	v_mov_b32_e32 v135, v133
	v_pk_fma_f32 v[168:169], v[130:131], v[24:25], v[128:129] op_sel:[0,0,1] op_sel_hi:[1,1,0] neg_lo:[0,0,1] neg_hi:[0,0,1]
	v_pk_fma_f32 v[170:171], v[130:131], v[84:85], v[128:129] op_sel:[0,0,1] op_sel_hi:[1,0,0]
	ds_read2_b64 v[128:131], v125 offset0:112 offset1:175
	v_mov_b32_e32 v24, v95
	v_mov_b32_e32 v169, v171
	;; [unrolled: 1-line block ×3, first 2 shown]
	s_waitcnt lgkmcnt(0)
	v_pk_mul_f32 v[136:137], v[128:129], v[24:25] op_sel_hi:[1,0]
	v_mov_b32_e32 v24, v87
	v_pk_fma_f32 v[138:139], v[128:129], v[94:95], v[136:137] op_sel:[0,0,1] op_sel_hi:[1,1,0] neg_lo:[0,0,1] neg_hi:[0,0,1]
	v_pk_fma_f32 v[128:129], v[128:129], v[94:95], v[136:137] op_sel:[0,0,1] op_sel_hi:[1,0,0]
	v_pk_mul_f32 v[136:137], v[130:131], v[24:25] op_sel_hi:[1,0]
	v_mov_b32_e32 v139, v129
	v_pk_fma_f32 v[172:173], v[130:131], v[86:87], v[136:137] op_sel:[0,0,1] op_sel_hi:[1,1,0] neg_lo:[0,0,1] neg_hi:[0,0,1]
	v_pk_fma_f32 v[174:175], v[130:131], v[86:87], v[136:137] op_sel:[0,0,1] op_sel_hi:[1,0,0]
	ds_read2_b64 v[128:131], v184 offset1:63
	v_mov_b32_e32 v173, v175
	v_pk_add_f32 v[96:97], v[168:169], v[172:173]
	s_waitcnt lgkmcnt(0)
	v_pk_add_f32 v[132:133], v[128:129], v[134:135]
	s_nop 0
	v_pk_add_f32 v[176:177], v[132:133], v[138:139]
	v_pk_add_f32 v[132:133], v[134:135], v[138:139]
	v_pk_add_f32 v[134:135], v[134:135], v[138:139] neg_lo:[0,1] neg_hi:[0,1]
	v_pk_fma_f32 v[128:129], v[132:133], 0.5, v[128:129] op_sel_hi:[1,0,1] neg_lo:[1,0,0] neg_hi:[1,0,0]
	v_pk_mul_f32 v[132:133], v[134:135], s[2:3] op_sel_hi:[1,0]
	v_pk_fma_f32 v[96:97], v[96:97], 0.5, v[130:131] op_sel_hi:[1,0,1] neg_lo:[1,0,0] neg_hi:[1,0,0]
	v_pk_add_f32 v[178:179], v[128:129], v[132:133] op_sel:[0,1] op_sel_hi:[1,0] neg_lo:[0,1] neg_hi:[0,1]
	v_pk_add_f32 v[180:181], v[128:129], v[132:133] op_sel:[0,1] op_sel_hi:[1,0]
	ds_read2_b64 v[126:129], v126 offset0:124 offset1:187
	ds_read2_b64 v[132:135], v121 offset0:122 offset1:185
	;; [unrolled: 1-line block ×3, first 2 shown]
	v_pk_add_f32 v[130:131], v[130:131], v[168:169]
	v_pk_add_f32 v[168:169], v[168:169], v[172:173] neg_lo:[0,1] neg_hi:[0,1]
	v_mov_b32_e32 v182, v180
	v_pk_mul_f32 v[168:169], v[168:169], s[2:3] op_sel_hi:[1,0]
	v_mov_b32_e32 v183, v179
	v_pk_add_f32 v[170:171], v[96:97], v[168:169] op_sel:[0,1] op_sel_hi:[1,0]
	v_pk_add_f32 v[96:97], v[96:97], v[168:169] op_sel:[0,1] op_sel_hi:[1,0] neg_lo:[0,1] neg_hi:[0,1]
	v_mov_b32_e32 v179, v181
	v_pk_add_f32 v[130:131], v[130:131], v[172:173]
	v_mov_b32_e32 v168, v170
	v_mov_b32_e32 v169, v97
	;; [unrolled: 1-line block ×3, first 2 shown]
	s_waitcnt lgkmcnt(0)
	; wave barrier
	s_waitcnt lgkmcnt(0)
	ds_write2_b64 v184, v[176:177], v[182:183] offset1:72
	ds_write_b64 v184, v[178:179] offset:1152
	ds_write2_b64 v23, v[130:131], v[168:169] offset1:72
	ds_write_b64 v23, v[96:97] offset:1152
	v_pk_add_f32 v[96:97], v[136:137], v[156:157]
	v_pk_add_f32 v[130:131], v[156:157], v[164:165]
	v_pk_add_f32 v[156:157], v[156:157], v[164:165] neg_lo:[0,1] neg_hi:[0,1]
	v_pk_fma_f32 v[130:131], v[130:131], 0.5, v[136:137] op_sel_hi:[1,0,1] neg_lo:[1,0,0] neg_hi:[1,0,0]
	v_pk_mul_f32 v[136:137], v[156:157], s[2:3] op_sel_hi:[1,0]
	v_pk_add_f32 v[96:97], v[96:97], v[164:165]
	v_pk_add_f32 v[156:157], v[130:131], v[136:137] op_sel:[0,1] op_sel_hi:[1,0]
	v_pk_add_f32 v[130:131], v[130:131], v[136:137] op_sel:[0,1] op_sel_hi:[1,0] neg_lo:[0,1] neg_hi:[0,1]
	v_mov_b32_e32 v136, v156
	v_mov_b32_e32 v137, v131
	ds_write2_b64 v15, v[96:97], v[136:137] offset1:72
	v_pk_add_f32 v[136:137], v[138:139], v[152:153]
	v_mov_b32_e32 v131, v157
	v_pk_add_f32 v[96:97], v[152:153], v[160:161]
	ds_write_b64 v15, v[130:131] offset:1152
	v_pk_add_f32 v[130:131], v[136:137], v[160:161]
	v_pk_add_f32 v[136:137], v[152:153], v[160:161] neg_lo:[0,1] neg_hi:[0,1]
	v_pk_fma_f32 v[96:97], v[96:97], 0.5, v[138:139] op_sel_hi:[1,0,1] neg_lo:[1,0,0] neg_hi:[1,0,0]
	v_pk_mul_f32 v[136:137], v[136:137], s[2:3] op_sel_hi:[1,0]
	v_mul_u32_u24_e32 v15, 0xd8, v16
	v_pk_add_f32 v[138:139], v[96:97], v[136:137] op_sel:[0,1] op_sel_hi:[1,0]
	v_pk_add_f32 v[96:97], v[96:97], v[136:137] op_sel:[0,1] op_sel_hi:[1,0] neg_lo:[0,1] neg_hi:[0,1]
	v_add_lshl_u32 v15, v15, v19, 3
	v_mov_b32_e32 v136, v138
	v_mov_b32_e32 v137, v97
	ds_write2_b64 v15, v[130:131], v[136:137] offset1:72
	v_pk_add_f32 v[130:131], v[140:141], v[148:149]
	v_pk_add_f32 v[136:137], v[140:141], v[148:149] neg_lo:[0,1] neg_hi:[0,1]
	v_pk_fma_f32 v[130:131], v[130:131], 0.5, v[126:127] op_sel_hi:[1,0,1] neg_lo:[1,0,0] neg_hi:[1,0,0]
	v_pk_mul_f32 v[136:137], v[136:137], s[2:3] op_sel_hi:[1,0]
	v_mov_b32_e32 v97, v139
	s_movk_i32 s3, 0xd8
	v_pk_add_f32 v[142:143], v[130:131], v[136:137] op_sel:[0,1] op_sel_hi:[1,0] neg_lo:[0,1] neg_hi:[0,1]
	v_pk_add_f32 v[130:131], v[130:131], v[136:137] op_sel:[0,1] op_sel_hi:[1,0]
	ds_write_b64 v15, v[96:97] offset:1152
	v_pk_add_f32 v[96:97], v[126:127], v[140:141]
	v_mad_legacy_u16 v11, v11, s3, v12
	v_pk_add_f32 v[96:97], v[96:97], v[148:149]
	v_lshlrev_b32_e32 v11, 3, v11
	v_mov_b32_e32 v126, v130
	v_mov_b32_e32 v127, v143
	ds_write2_b64 v11, v[96:97], v[126:127] offset1:72
	v_pk_add_f32 v[96:97], v[116:117], v[144:145]
	v_pk_add_f32 v[118:119], v[128:129], v[116:117]
	v_pk_add_f32 v[116:117], v[116:117], v[144:145] neg_lo:[0,1] neg_hi:[0,1]
	v_pk_fma_f32 v[96:97], v[96:97], 0.5, v[128:129] op_sel_hi:[1,0,1] neg_lo:[1,0,0] neg_hi:[1,0,0]
	v_pk_mul_f32 v[116:117], v[116:117], s[2:3] op_sel_hi:[1,0]
	v_mad_legacy_u16 v7, v7, s3, v8
	v_pk_add_f32 v[126:127], v[96:97], v[116:117] op_sel:[0,1] op_sel_hi:[1,0] neg_lo:[0,1] neg_hi:[0,1]
	v_pk_add_f32 v[96:97], v[96:97], v[116:117] op_sel:[0,1] op_sel_hi:[1,0]
	v_mov_b32_e32 v143, v131
	v_pk_add_f32 v[116:117], v[118:119], v[144:145]
	v_lshlrev_b32_e32 v7, 3, v7
	v_mov_b32_e32 v118, v96
	v_mov_b32_e32 v119, v127
	v_pk_fma_f32 v[110:111], v[110:111], 0.5, v[132:133] op_sel_hi:[1,0,1] neg_lo:[1,0,0] neg_hi:[1,0,0]
	v_pk_mul_f32 v[114:115], v[114:115], s[2:3] op_sel_hi:[1,0]
	ds_write_b64 v11, v[142:143] offset:1152
	ds_write2_b64 v7, v[116:117], v[118:119] offset1:72
	v_pk_add_f32 v[116:117], v[110:111], v[114:115] op_sel:[0,1] op_sel_hi:[1,0] neg_lo:[0,1] neg_hi:[0,1]
	v_pk_add_f32 v[110:111], v[110:111], v[114:115] op_sel:[0,1] op_sel_hi:[1,0]
	v_mov_b32_e32 v127, v97
	v_pk_add_f32 v[96:97], v[132:133], v[106:107]
	v_mad_legacy_u16 v0, v0, s3, v3
	v_pk_add_f32 v[96:97], v[96:97], v[108:109]
	v_lshlrev_b32_e32 v0, 3, v0
	v_mov_b32_e32 v106, v110
	v_mov_b32_e32 v107, v117
	ds_write_b64 v7, v[126:127] offset:1152
	ds_write2_b64 v0, v[96:97], v[106:107] offset1:72
	v_pk_add_f32 v[96:97], v[98:99], v[102:103]
	v_pk_add_f32 v[100:101], v[134:135], v[98:99]
	v_pk_add_f32 v[98:99], v[98:99], v[102:103] neg_lo:[0,1] neg_hi:[0,1]
	v_pk_fma_f32 v[96:97], v[96:97], 0.5, v[134:135] op_sel_hi:[1,0,1] neg_lo:[1,0,0] neg_hi:[1,0,0]
	v_pk_mul_f32 v[98:99], v[98:99], s[2:3] op_sel_hi:[1,0]
	v_mov_b32_e32 v117, v111
	v_pk_add_f32 v[222:223], v[98:99], v[96:97] op_sel:[1,0] op_sel_hi:[0,1]
	v_pk_add_f32 v[156:157], v[96:97], v[98:99] op_sel:[0,1] op_sel_hi:[1,0] neg_lo:[0,1] neg_hi:[0,1]
	v_accvgpr_write_b32 a235, v0
	ds_write_b64 v0, v[116:117] offset:1152
	v_pk_add_f32 v[144:145], v[100:101], v[102:103]
	v_mov_b32_e32 v96, v222
	v_mov_b32_e32 v97, v157
	v_add_u32_e32 v0, 0x2800, v205
	ds_write2_b64 v0, v[144:145], v[96:97] offset0:16 offset1:88
	v_mov_b32_e32 v96, v156
	v_mov_b32_e32 v97, v223
	ds_write_b64 v205, v[96:97] offset:11520
	s_waitcnt lgkmcnt(0)
	; wave barrier
	s_waitcnt lgkmcnt(0)
	ds_read_b64 v[114:115], v184 offset:11376
	ds_read2_b64 v[168:171], v123 offset0:46 offset1:136
	ds_read2_b64 v[164:167], v120 offset0:96 offset1:159
	;; [unrolled: 1-line block ×8, first 2 shown]
	ds_read2_b64 a[216:219], v184 offset1:63
	ds_read2_b64 v[148:151], v184 offset0:126 offset1:216
	v_accvgpr_write_b32 a232, v15
	v_accvgpr_write_b32 a233, v11
	v_accvgpr_write_b32 a234, v7
	s_and_saveexec_b64 s[2:3], s[0:1]
	s_xor_b64 s[2:3], exec, s[2:3]
	s_or_saveexec_b64 s[2:3], s[2:3]
	v_accvgpr_write_b32 a102, v194
	v_accvgpr_write_b32 a64, v192
	;; [unrolled: 1-line block ×3, first 2 shown]
	v_mov_b32_e32 v28, v198
	v_mov_b32_e32 v24, v196
	v_accvgpr_write_b32 a103, v195
	v_accvgpr_write_b32 a65, v193
	v_mov_b32_e32 v20, v188
	v_accvgpr_write_b32 a63, v187
                                        ; implicit-def: $vgpr4
                                        ; implicit-def: $vgpr138
                                        ; implicit-def: $vgpr8
                                        ; implicit-def: $vgpr224
                                        ; implicit-def: $vgpr0
                                        ; implicit-def: $vgpr12
	s_xor_b64 exec, exec, s[2:3]
	s_cbranch_execz .LBB0_3
; %bb.2:
	v_add_u32_e32 v0, 0x500, v184
	ds_read2_b64 v[144:147], v0 offset0:29 offset1:245
	v_add_u32_e32 v0, 0x1300, v184
	ds_read2_b64 v[156:159], v0 offset0:13 offset1:229
	;; [unrolled: 2-line block ×3, first 2 shown]
	ds_read_b64 v[224:225], v184 offset:11880
	s_waitcnt lgkmcnt(3)
	v_mov_b32_e32 v222, v146
	s_waitcnt lgkmcnt(2)
	v_mov_b32_e32 v223, v157
	v_mov_b32_e32 v157, v147
	;; [unrolled: 1-line block ×3, first 2 shown]
	s_waitcnt lgkmcnt(1)
	v_mov_b32_e32 v8, v139
	s_waitcnt lgkmcnt(0)
	v_mov_b32_e32 v0, v225
	v_mov_b32_e32 v12, v137
.LBB0_3:
	s_or_b64 exec, exec, s[2:3]
	s_mov_b64 s[2:3], 0x1280
	v_mad_u64_u32 v[140:141], s[14:15], v204, 48, s[10:11]
	v_lshl_add_u64 v[116:117], v[140:141], 0, s[2:3]
	global_load_dwordx4 v[96:99], v[140:141], off offset:1744
	global_load_dwordx4 v[100:103], v[116:117], off offset:16
	s_movk_i32 s2, 0x1000
	v_subrev_u32_e32 v3, 27, v204
	v_cndmask_b32_e32 v3, v3, v112, vcc
	s_waitcnt lgkmcnt(3)
	v_mov_b32_e32 v254, v181
	v_mov_b32_e32 v250, v183
	;; [unrolled: 1-line block ×8, first 2 shown]
	s_mov_b32 s24, 0xbf08b237
	s_mov_b32 s14, 0x3f4a47b2
	s_mov_b32 s22, 0x3d64c772
	s_mov_b32 s16, 0x3eae86e6
	s_mov_b32 s18, 0x3f955555
	s_mov_b32 s20, 0x3f3bfb3b
	v_accvgpr_mov_b32 a93, a92
	v_accvgpr_mov_b32 a97, a96
	v_accvgpr_mov_b32 a109, a108
	v_accvgpr_mov_b32 a91, a90
	v_accvgpr_mov_b32 a123, a122
	v_accvgpr_mov_b32 a99, a98
	v_accvgpr_mov_b32 a171, a170
	v_accvgpr_mov_b32 a119, a118
	v_accvgpr_mov_b32 a179, a178
	v_accvgpr_mov_b32 a169, a168
	v_accvgpr_mov_b32 a187, a186
	v_accvgpr_mov_b32 a175, a174
	v_accvgpr_mov_b32 a195, a194
	v_accvgpr_mov_b32 a105, a104
	v_accvgpr_mov_b32 a183, a182
	v_accvgpr_mov_b32 a207, a206
	v_accvgpr_mov_b32 a113, a112
	v_accvgpr_mov_b32 a191, a190
	v_accvgpr_mov_b32 a209, a208
	v_accvgpr_mov_b32 a167, a166
	v_accvgpr_mov_b32 a205, a204
	v_accvgpr_mov_b32 a213, a212
	v_accvgpr_mov_b32 a173, a172
	v_accvgpr_mov_b32 a215, a214
	v_accvgpr_mov_b32 a211, a210
	v_accvgpr_mov_b32 a181, a180
	v_accvgpr_mov_b32 a221, a220
	v_accvgpr_mov_b32 a223, a222
	v_accvgpr_mov_b32 a189, a188
	v_accvgpr_mov_b32 a225, a224
	v_accvgpr_mov_b32 a229, a228
	v_accvgpr_mov_b32 a165, a164
	v_accvgpr_mov_b32 a161, a160
	v_accvgpr_mov_b32 a163, a162
	v_accvgpr_mov_b32 a159, a158
	v_accvgpr_mov_b32 a121, a120
	v_accvgpr_mov_b32 a137, a136
	v_accvgpr_mov_b32 a107, a106
	v_accvgpr_mov_b32 a143, a142
	v_accvgpr_mov_b32 a151, a150
	v_accvgpr_mov_b32 a145, a144
	v_accvgpr_mov_b32 a89, a88
	v_accvgpr_mov_b32 a125, a124
	v_accvgpr_mov_b32 a83, a82
	v_accvgpr_mov_b32 a115, a114
	v_accvgpr_mov_b32 a101, a100
	v_accvgpr_mov_b32 a135, a134
	v_mov_b32_e32 v19, v18
	v_accvgpr_mov_b32 a133, a132
	v_accvgpr_mov_b32 a131, a130
	v_mov_b32_e32 v15, v14
	v_accvgpr_mov_b32 a129, a128
	v_accvgpr_mov_b32 a111, a110
	;; [unrolled: 3-line block ×3, first 2 shown]
	v_mov_b32_e32 v23, v22
	v_mov_b32_e32 v31, v30
	;; [unrolled: 1-line block ×5, first 2 shown]
	s_waitcnt vmcnt(1)
	v_pk_mul_f32 v[118:119], v[108:109], v[98:99] op_sel_hi:[1,0]
	v_mov_b32_e32 v16, v99
	v_pk_fma_f32 v[228:229], v[108:109], v[16:17], v[118:119] op_sel:[0,0,1] op_sel_hi:[1,0,0]
	v_pk_fma_f32 v[230:231], v[108:109], v[16:17], v[118:119] op_sel:[0,0,1] op_sel_hi:[1,0,0] neg_lo:[1,0,0] neg_hi:[1,0,0]
	v_add_co_u32_e64 v108, s[2:3], s2, v140
	s_waitcnt vmcnt(0)
	v_mul_f32_e32 v221, v172, v101
	v_addc_co_u32_e64 v109, s[2:3], 0, v141, s[2:3]
	global_load_dwordx4 v[120:123], v[116:117], off offset:32
	global_load_dwordx4 v[124:127], v[108:109], off offset:640
	s_mov_b64 s[2:3], 0x1e50
	v_mul_f32_e32 v241, v167, v102
	v_mul_f32_e32 v245, v166, v103
	;; [unrolled: 1-line block ×3, first 2 shown]
	v_mov_b32_e32 v229, v231
	v_accvgpr_write_b32 a176, v36
	v_accvgpr_write_b32 a177, v36
	v_mov_b32_e32 v36, v37
	v_mov_b32_e32 v39, v38
	v_mov_b32_e32 v40, v41
	v_mov_b32_e32 v43, v42
	v_accvgpr_write_b32 a184, v44
	v_accvgpr_write_b32 a185, v44
	v_mov_b32_e32 v44, v45
	v_mov_b32_e32 v47, v46
	v_mov_b32_e32 v52, v53
	v_mov_b32_e32 v55, v54
	v_accvgpr_write_b32 a192, v48
	v_accvgpr_write_b32 a193, v48
	v_mov_b32_e32 v48, v49
	v_mov_b32_e32 v51, v50
	v_mov_b32_e32 v60, v61
	v_mov_b32_e32 v63, v62
	v_mov_b32_e32 v59, v58
	;; [unrolled: 1-line block ×3, first 2 shown]
	v_accvgpr_write_b32 a236, v64
	v_accvgpr_write_b32 a237, v64
	v_mov_b32_e32 v92, v93
	v_mov_b32_e32 v95, v94
	v_accvgpr_write_b32 a238, v68
	v_accvgpr_write_b32 a239, v68
	v_mov_b32_e32 v75, v74
	v_mov_b32_e32 v64, v65
	;; [unrolled: 1-line block ×6, first 2 shown]
	v_accvgpr_write_b32 a226, v88
	v_accvgpr_write_b32 a227, v88
	v_mov_b32_e32 v88, v89
	v_mov_b32_e32 v91, v90
	;; [unrolled: 1-line block ×4, first 2 shown]
	s_waitcnt vmcnt(1)
	v_pk_mul_f32 v[116:117], v[110:111], v[122:123] op_sel_hi:[1,0]
	v_mov_b32_e32 v16, v123
	v_pk_fma_f32 v[232:233], v[110:111], v[16:17], v[116:117] op_sel:[0,0,1] op_sel_hi:[1,0,0]
	v_pk_fma_f32 v[236:237], v[110:111], v[16:17], v[116:117] op_sel:[0,0,1] op_sel_hi:[1,0,0] neg_lo:[1,0,0] neg_hi:[1,0,0]
	s_waitcnt vmcnt(0) lgkmcnt(2)
	v_pk_mul_f32 v[110:111], v[104:105], v[124:125] op_sel_hi:[1,0]
	v_mul_f32_e32 v7, v183, v127
	v_pk_fma_f32 v[234:235], v[104:105], v[124:125], v[110:111] op_sel:[0,1,1] op_sel_hi:[1,1,0]
	v_pk_fma_f32 v[188:189], v[104:105], v[124:125], v[110:111] op_sel:[0,1,1] op_sel_hi:[1,1,0] neg_lo:[1,0,0] neg_hi:[1,0,0]
	global_load_dwordx4 v[108:111], v[108:109], off offset:3664
	v_lshl_add_u64 v[104:105], v[140:141], 0, s[2:3]
	global_load_dwordx4 v[132:135], v[104:105], off offset:16
	v_mov_b32_e32 v183, v167
	v_fma_f32 v208, v182, v126, -v7
	s_mov_b32 s2, 0x3ee1c552
	v_mov_b32_e32 v235, v189
	v_mov_b32_e32 v233, v237
	;; [unrolled: 1-line block ×4, first 2 shown]
	s_waitcnt vmcnt(1)
	v_pk_mul_f32 v[116:117], v[106:107], v[108:109] op_sel_hi:[1,0]
	s_nop 0
	v_pk_fma_f32 v[146:147], v[106:107], v[108:109], v[116:117] op_sel:[0,1,1] op_sel_hi:[1,1,0]
	v_pk_fma_f32 v[226:227], v[106:107], v[108:109], v[116:117] op_sel:[0,1,1] op_sel_hi:[1,1,0] neg_lo:[1,0,0] neg_hi:[1,0,0]
	v_mul_hi_i32_i24_e32 v107, 48, v3
	v_mul_i32_i24_e32 v106, 48, v3
	v_lshl_add_u64 v[112:113], s[10:11], 0, v[106:107]
	global_load_dwordx4 v[128:131], v[104:105], off offset:32
	s_nop 0
	global_load_dwordx4 v[104:107], v[112:113], off offset:1712
	s_waitcnt vmcnt(2)
	v_mul_f32_e32 v203, v160, v135
	s_mov_b32 s10, 0x3f5ff5aa
	v_mov_b32_e32 v147, v227
	s_waitcnt vmcnt(1)
	v_pk_mul_f32 v[116:117], v[114:115], v[130:131] op_sel_hi:[1,0]
	v_mov_b32_e32 v16, v131
	v_pk_fma_f32 v[192:193], v[114:115], v[16:17], v[116:117] op_sel:[0,0,1] op_sel_hi:[1,0,0]
	v_pk_fma_f32 v[194:195], v[114:115], v[16:17], v[116:117] op_sel:[0,0,1] op_sel_hi:[1,0,0] neg_lo:[1,0,0] neg_hi:[1,0,0]
	global_load_dwordx4 v[116:119], v[112:113], off offset:1728
	s_nop 0
	global_load_dwordx4 v[112:115], v[112:113], off offset:1744
	v_mul_f32_e32 v7, v179, v129
	s_waitcnt vmcnt(2)
	v_accvgpr_write_b32 a243, v107
	v_accvgpr_write_b32 a242, v106
	;; [unrolled: 1-line block ×4, first 2 shown]
	v_mov_b32_e32 v193, v195
	v_mov_b32_e32 v202, v195
	;; [unrolled: 1-line block ×3, first 2 shown]
	s_waitcnt vmcnt(1)
	v_mov_b32_e32 v152, v119
	v_mov_b32_e32 v153, v118
	s_waitcnt vmcnt(0)
	v_pk_mul_f32 v[142:143], v[8:9], v[112:113] op_sel_hi:[0,1]
	v_pk_mul_f32 v[196:197], v[12:13], v[152:153] op_sel_hi:[0,1]
	v_pk_fma_f32 v[214:215], v[138:139], v[112:113], v[142:143] op_sel:[0,0,1] op_sel_hi:[0,1,0]
	v_pk_fma_f32 v[216:217], v[138:139], v[112:113], v[142:143] op_sel:[0,0,1] op_sel_hi:[0,1,0] neg_lo:[0,0,1] neg_hi:[0,0,1]
	v_pk_fma_f32 v[218:219], v[136:137], v[118:119], v[196:197] op_sel_hi:[0,1,1]
	v_pk_fma_f32 v[252:253], v[136:137], v[118:119], v[196:197] op_sel_hi:[0,1,1] neg_lo:[0,0,1] neg_hi:[0,0,1]
	global_load_dwordx4 v[136:139], v[140:141], off offset:1712
	s_nop 0
	global_load_dwordx4 v[140:143], v[140:141], off offset:1728
	v_mov_b32_e32 v253, v219
	v_mov_b32_e32 v217, v215
	;; [unrolled: 1-line block ×3, first 2 shown]
	v_accvgpr_write_b32 a249, v153
	v_accvgpr_write_b32 a248, v152
	;; [unrolled: 1-line block ×10, first 2 shown]
	v_mov_b32_e32 v12, v13
	v_mov_b32_e32 v8, v9
	s_waitcnt vmcnt(1)
	v_mul_f32_e32 v3, v181, v139
	v_mov_b32_e32 v181, v165
	v_mov_b32_e32 v196, v139
	s_waitcnt vmcnt(0)
	v_mov_b32_e32 v197, v143
	v_pk_mul_f32 v[248:249], v[180:181], v[196:197]
	v_mov_b32_e32 v196, v127
	v_mov_b32_e32 v197, v103
	v_pk_mul_f32 v[200:201], v[182:183], v[196:197]
	v_fma_f32 v212, v180, v138, -v3
	v_mul_f32_e32 v3, v177, v121
	v_mov_b32_e32 v177, v173
	v_mov_b32_e32 v182, v121
	;; [unrolled: 1-line block ×7, first 2 shown]
	v_pk_mul_f32 v[210:211], v[176:177], v[182:183]
	v_pk_mul_f32 v[182:183], v[178:179], v[196:197]
	v_fma_f32 v220, v176, v120, -v3
	v_fma_f32 v176, v178, v128, -v7
	v_mul_f32_e32 v3, v169, v111
	v_mov_b32_e32 v169, v161
	v_mov_b32_e32 v178, v111
	;; [unrolled: 1-line block ×3, first 2 shown]
	v_mul_f32_e32 v177, v174, v133
	v_mov_b32_e32 v181, v174
	v_fma_f32 v172, v168, v110, -v3
	v_mul_f32_e32 v213, v171, v140
	v_mov_b32_e32 v174, v163
	v_mul_f32_e32 v3, v163, v97
	v_mov_b32_e32 v163, v171
	v_pk_mul_f32 v[242:243], v[168:169], v[178:179]
	v_mul_f32_e32 v171, v165, v142
	v_mul_f32_e32 v179, v164, v143
	v_mov_b32_e32 v164, v97
	v_mov_b32_e32 v165, v141
	v_mul_f32_e32 v197, v161, v134
	v_pk_mul_f32 v[160:161], v[4:5], v[116:117] op_sel_hi:[0,1]
	v_fma_f32 v168, v162, v96, -v3
	v_pk_mul_f32 v[246:247], v[162:163], v[164:165]
	v_pk_fma_f32 v[162:163], v[158:159], v[116:117], v[160:161] op_sel:[0,0,1] op_sel_hi:[0,1,0]
	v_pk_fma_f32 v[166:167], v[158:159], v[116:117], v[160:161] op_sel:[0,0,1] op_sel_hi:[0,1,0] neg_lo:[0,0,1] neg_hi:[0,0,1]
	v_pk_mul_f32 v[158:159], v[222:223], v[106:107] op_sel:[1,0]
	v_mov_b32_e32 v167, v163
	v_pk_fma_f32 v[160:161], v[156:157], v[106:107], v[158:159] op_sel:[0,0,1] op_sel_hi:[0,1,0]
	v_pk_fma_f32 v[164:165], v[156:157], v[106:107], v[158:159] op_sel:[0,0,1] op_sel_hi:[0,1,0] neg_lo:[0,0,1] neg_hi:[0,0,1]
	v_pk_mul_f32 v[156:157], v[156:157], v[104:105] op_sel:[1,0]
	v_mov_b32_e32 v165, v161
	v_pk_fma_f32 v[158:159], v[222:223], v[104:105], v[156:157] op_sel:[0,0,1] op_sel_hi:[0,1,0]
	v_pk_fma_f32 v[156:157], v[222:223], v[104:105], v[156:157] op_sel:[0,0,1] op_sel_hi:[0,1,0] neg_lo:[0,0,1] neg_hi:[0,0,1]
	v_mov_b32_e32 v157, v159
	v_pk_mul_f32 v[158:159], v[0:1], v[114:115] op_sel_hi:[0,1]
	v_pk_fma_f32 v[160:161], v[224:225], v[114:115], v[158:159] op_sel:[0,0,1] op_sel_hi:[0,1,0]
	v_pk_fma_f32 v[162:163], v[224:225], v[114:115], v[158:159] op_sel:[0,0,1] op_sel_hi:[0,1,0] neg_lo:[0,0,1] neg_hi:[0,0,1]
	s_waitcnt lgkmcnt(0)
	v_pk_mul_f32 v[222:223], v[150:151], v[136:137] op_sel_hi:[1,0]
	v_mul_f32_e32 v173, v175, v132
	v_mov_b32_e32 v175, v170
	v_mov_b32_e32 v163, v161
	v_mov_b32_e32 v214, v138
	v_mov_b32_e32 v215, v142
	v_mov_b32_e32 v219, v140
	v_pk_fma_f32 v[224:225], v[150:151], v[136:137], v[222:223] op_sel:[0,1,1] op_sel_hi:[1,1,0]
	v_pk_fma_f32 v[150:151], v[150:151], v[136:137], v[222:223] op_sel:[0,1,1] op_sel_hi:[1,1,0] neg_lo:[1,0,0] neg_hi:[1,0,0]
	v_mul_f32_e32 v169, v170, v141
	v_pk_add_f32 v[158:159], v[156:157], v[162:163]
	v_pk_add_f32 v[156:157], v[156:157], v[162:163] neg_lo:[0,1] neg_hi:[0,1]
	v_pk_add_f32 v[162:163], v[164:165], v[216:217]
	v_pk_add_f32 v[164:165], v[164:165], v[216:217] neg_lo:[0,1] neg_hi:[0,1]
	v_pk_fma_f32 v[214:215], v[254:255], v[214:215], v[248:249] neg_lo:[0,0,1] neg_hi:[0,0,1]
	v_pk_fma_f32 v[216:217], v[254:255], v[138:139], v[248:249]
	v_pk_fma_f32 v[218:219], v[174:175], v[218:219], v[246:247] neg_lo:[0,0,1] neg_hi:[0,0,1]
	v_pk_fma_f32 v[174:175], v[174:175], v[96:97], v[246:247]
	v_mov_b32_e32 v170, v151
	v_mov_b32_e32 v178, v231
	v_pk_add_f32 v[160:161], v[166:167], v[252:253]
	v_pk_add_f32 v[166:167], v[252:253], v[166:167] neg_lo:[0,1] neg_hi:[0,1]
	v_mov_b32_e32 v225, v151
	v_mov_b32_e32 v217, v215
	v_mov_b32_e32 v175, v219
	v_pk_add_f32 v[230:231], v[170:171], v[178:179]
	v_pk_add_f32 v[252:253], v[212:213], v[168:169]
	;; [unrolled: 1-line block ×4, first 2 shown]
	v_mov_b32_e32 v151, v212
	v_mov_b32_e32 v150, v231
	;; [unrolled: 1-line block ×4, first 2 shown]
	v_pk_add_f32 v[212:213], v[150:151], v[168:169] neg_lo:[0,1] neg_hi:[0,1]
	v_mov_b32_e32 v150, v219
	v_mov_b32_e32 v151, v248
	;; [unrolled: 1-line block ×4, first 2 shown]
	v_pk_add_f32 v[228:229], v[224:225], v[228:229] neg_lo:[0,1] neg_hi:[0,1]
	v_pk_add_f32 v[152:153], v[150:151], v[168:169]
	v_pk_add_f32 v[150:151], v[166:167], v[164:165] op_sel:[1,1] op_sel_hi:[0,0] neg_lo:[0,1] neg_hi:[0,1]
	v_pk_add_f32 v[168:169], v[158:159], v[160:161] neg_lo:[0,1] neg_hi:[0,1]
	v_pk_add_f32 v[224:225], v[164:165], v[156:157] op_sel:[1,1] op_sel_hi:[0,0] neg_lo:[0,1] neg_hi:[0,1]
	v_pk_add_f32 v[154:155], v[252:253], v[230:231]
	v_pk_add_f32 v[216:217], v[216:217], v[174:175] neg_lo:[0,1] neg_hi:[0,1]
	v_pk_mul_f32 v[150:151], v[150:151], s[24:25] op_sel_hi:[1,0]
	v_pk_mul_f32 v[168:169], v[168:169], s[14:15] op_sel_hi:[1,0]
	v_pk_add_f32 v[170:171], v[160:161], v[162:163] neg_lo:[0,1] neg_hi:[0,1]
	v_pk_mul_f32 v[174:175], v[224:225], s[10:11] op_sel_hi:[1,0]
	v_pk_add_f32 v[218:219], v[156:157], v[166:167] op_sel:[1,1] op_sel_hi:[0,0] neg_lo:[0,1] neg_hi:[0,1]
	v_mov_b32_e32 v254, v212
	v_mov_b32_e32 v255, v229
	v_mov_b32_e32 v214, v152
	v_mov_b32_e32 v215, v246
	v_mov_b32_e32 v253, v155
	v_accvgpr_read_b32 v116, a216
	v_pk_mul_f32 v[178:179], v[170:171], s[22:23] op_sel_hi:[1,0]
	v_pk_fma_f32 v[170:171], v[170:171], s[22:23], v[168:169] op_sel_hi:[1,0,1]
	v_pk_fma_f32 v[174:175], v[218:219], s[16:17], v[174:175] op_sel_hi:[1,0,1] neg_lo:[1,0,1] neg_hi:[1,0,1]
	v_pk_fma_f32 v[222:223], v[218:219], s[16:17], v[150:151] op_sel_hi:[1,0,1]
	v_mov_b32_e32 v218, v228
	v_mov_b32_e32 v219, v217
	v_pk_add_f32 v[254:255], v[254:255], v[216:217] neg_lo:[0,1] neg_hi:[0,1]
	s_mov_b32 s25, s16
	v_pk_add_f32 v[214:215], v[214:215], v[252:253] neg_lo:[0,1] neg_hi:[0,1]
	v_mov_b32_e32 v231, v155
	v_pk_add_f32 v[154:155], v[154:155], v[152:153]
	v_mov_b32_e32 v153, v248
	s_mov_b32 s23, s14
	v_accvgpr_read_b32 v117, a217
	v_pk_add_f32 v[218:219], v[218:219], v[212:213] neg_lo:[0,1] neg_hi:[0,1]
	s_mov_b32 s17, s24
	v_pk_mul_f32 v[254:255], v[254:255], s[24:25]
	v_pk_add_f32 v[198:199], v[216:217], v[212:213]
	v_pk_add_f32 v[152:153], v[230:231], v[152:153] neg_lo:[0,1] neg_hi:[0,1]
	v_pk_mul_f32 v[214:215], v[214:215], s[22:23]
	s_mov_b32 s15, s22
	v_pk_add_f32 v[104:105], v[116:117], v[154:155]
	v_pk_add_f32 v[198:199], v[198:199], v[228:229]
	v_pk_fma_f32 v[106:107], v[154:155], s[18:19], v[104:105] op_sel_hi:[1,0,1] neg_lo:[1,0,0] neg_hi:[1,0,0]
	v_pk_fma_f32 v[154:155], v[152:153], s[14:15], v[214:215]
	v_pk_fma_f32 v[112:113], v[218:219], s[16:17], v[254:255]
	v_pk_add_f32 v[154:155], v[154:155], v[106:107]
	v_pk_fma_f32 v[112:113], v[198:199], s[2:3], v[112:113] op_sel_hi:[1,0,1]
	v_mov_b32_e32 v217, v213
	v_pk_add_f32 v[114:115], v[154:155], v[112:113]
	v_pk_add_f32 v[112:113], v[154:155], v[112:113] neg_lo:[0,1] neg_hi:[0,1]
	v_mov_b32_e32 v154, v114
	v_mov_b32_e32 v155, v113
	ds_write_b64 v184, v[154:155] offset:1728
	v_pk_add_f32 v[154:155], v[216:217], v[228:229] neg_lo:[0,1] neg_hi:[0,1]
	v_mov_b32_e32 v253, v248
	v_mov_b32_e32 v231, v246
	v_pk_mul_f32 v[216:217], v[218:219], s[16:17]
	v_pk_mul_f32 v[152:153], v[152:153], s[14:15]
	v_pk_add_f32 v[212:213], v[252:253], v[230:231] neg_lo:[0,1] neg_hi:[0,1]
	v_mov_b32_e32 v218, v152
	v_mov_b32_e32 v219, v215
	;; [unrolled: 1-line block ×6, first 2 shown]
	v_pk_fma_f32 v[218:219], v[212:213], s[20:21], v[218:219] op_sel_hi:[1,0,1] neg_lo:[1,0,1] neg_hi:[1,0,1]
	v_pk_fma_f32 v[228:229], v[154:155], s[10:11], v[228:229] op_sel_hi:[1,0,1] neg_lo:[1,0,1] neg_hi:[1,0,1]
	;; [unrolled: 1-line block ×4, first 2 shown]
	v_pk_add_f32 v[218:219], v[218:219], v[106:107]
	v_pk_add_f32 v[106:107], v[152:153], v[106:107]
	v_pk_fma_f32 v[152:153], v[198:199], s[2:3], v[154:155] op_sel_hi:[1,0,1]
	v_mov_b32_e32 v113, v115
	v_pk_add_f32 v[154:155], v[106:107], v[152:153] neg_lo:[0,1] neg_hi:[0,1]
	v_pk_add_f32 v[106:107], v[106:107], v[152:153]
	v_mov_b32_e32 v152, v154
	v_mov_b32_e32 v153, v107
	;; [unrolled: 1-line block ×3, first 2 shown]
	ds_write_b64 v184, v[106:107] offset:6912
	v_mov_b32_e32 v106, v126
	v_mov_b32_e32 v107, v102
	;; [unrolled: 1-line block ×4, first 2 shown]
	ds_write_b64 v184, v[152:153] offset:5184
	ds_write_b64 v184, v[112:113] offset:10368
	v_pk_fma_f32 v[106:107], v[250:251], v[106:107], v[200:201] neg_lo:[0,0,1] neg_hi:[0,0,1]
	v_pk_fma_f32 v[112:113], v[250:251], v[126:127], v[200:201]
	v_pk_fma_f32 v[114:115], v[186:187], v[114:115], v[210:211] neg_lo:[0,0,1] neg_hi:[0,0,1]
	v_pk_fma_f32 v[152:153], v[186:187], v[120:121], v[210:211]
	v_mov_b32_e32 v113, v107
	v_mov_b32_e32 v153, v115
	v_pk_fma_f32 v[228:229], v[198:199], s[2:3], v[228:229] op_sel_hi:[1,0,1]
	v_pk_add_f32 v[154:155], v[234:235], v[232:233]
	v_pk_add_f32 v[198:199], v[112:113], v[152:153]
	v_pk_add_f32 v[112:113], v[112:113], v[152:153] neg_lo:[0,1] neg_hi:[0,1]
	v_pk_add_f32 v[152:153], v[240:241], v[244:245]
	v_pk_add_f32 v[188:189], v[208:209], v[220:221]
	v_mov_b32_e32 v114, v115
	v_mov_b32_e32 v115, v198
	;; [unrolled: 1-line block ×4, first 2 shown]
	v_pk_add_f32 v[106:107], v[114:115], v[106:107]
	v_pk_add_f32 v[114:115], v[188:189], v[152:153]
	v_accvgpr_read_b32 v118, a218
	v_accvgpr_read_b32 v119, a219
	v_pk_add_f32 v[230:231], v[218:219], v[228:229]
	v_pk_add_f32 v[218:219], v[218:219], v[228:229] neg_lo:[0,1] neg_hi:[0,1]
	v_mov_b32_e32 v201, v208
	v_mov_b32_e32 v200, v153
	;; [unrolled: 1-line block ×6, first 2 shown]
	v_pk_add_f32 v[114:115], v[114:115], v[106:107]
	v_mov_b32_e32 v228, v230
	v_mov_b32_e32 v229, v219
	;; [unrolled: 1-line block ×3, first 2 shown]
	v_pk_add_f32 v[186:187], v[234:235], v[232:233] neg_lo:[0,1] neg_hi:[0,1]
	v_pk_add_f32 v[200:201], v[200:201], v[208:209] neg_lo:[0,1] neg_hi:[0,1]
	v_pk_add_f32 v[208:209], v[118:119], v[114:115]
	ds_write_b64 v184, v[228:229] offset:3456
	ds_write_b64 v184, v[218:219] offset:8640
	ds_write2_b64 v184, v[104:105], v[208:209] offset1:63
	v_pk_fma_f32 v[104:105], v[114:115], s[18:19], v[208:209] op_sel_hi:[1,0,1] neg_lo:[1,0,0] neg_hi:[1,0,0]
	v_mov_b32_e32 v208, v200
	v_mov_b32_e32 v209, v187
	;; [unrolled: 1-line block ×6, first 2 shown]
	v_pk_add_f32 v[208:209], v[208:209], v[112:113] neg_lo:[0,1] neg_hi:[0,1]
	v_pk_add_f32 v[212:213], v[212:213], v[188:189] neg_lo:[0,1] neg_hi:[0,1]
	v_mov_b32_e32 v107, v198
	v_pk_add_f32 v[114:115], v[114:115], v[200:201] neg_lo:[0,1] neg_hi:[0,1]
	v_pk_mul_f32 v[208:209], v[208:209], s[24:25]
	v_pk_add_f32 v[106:107], v[152:153], v[106:107] neg_lo:[0,1] neg_hi:[0,1]
	v_pk_mul_f32 v[212:213], v[212:213], s[22:23]
	v_pk_add_f32 v[210:211], v[112:113], v[200:201]
	v_pk_fma_f32 v[214:215], v[106:107], s[14:15], v[212:213]
	v_pk_fma_f32 v[216:217], v[114:115], s[16:17], v[208:209]
	v_mov_b32_e32 v113, v201
	v_mov_b32_e32 v189, v198
	;; [unrolled: 1-line block ×3, first 2 shown]
	v_pk_mul_f32 v[114:115], v[114:115], s[16:17]
	v_pk_mul_f32 v[106:107], v[106:107], s[14:15]
	v_pk_add_f32 v[210:211], v[210:211], v[186:187]
	v_pk_add_f32 v[112:113], v[112:113], v[186:187] neg_lo:[0,1] neg_hi:[0,1]
	v_pk_add_f32 v[152:153], v[188:189], v[152:153] neg_lo:[0,1] neg_hi:[0,1]
	v_mov_b32_e32 v154, v106
	v_mov_b32_e32 v155, v213
	v_mov_b32_e32 v186, v114
	v_mov_b32_e32 v187, v209
	v_mov_b32_e32 v213, v107
	v_mov_b32_e32 v209, v115
	v_pk_fma_f32 v[154:155], v[152:153], s[20:21], v[154:155] op_sel_hi:[1,0,1] neg_lo:[1,0,1] neg_hi:[1,0,1]
	v_pk_fma_f32 v[186:187], v[112:113], s[10:11], v[186:187] op_sel_hi:[1,0,1] neg_lo:[1,0,1] neg_hi:[1,0,1]
	;; [unrolled: 1-line block ×4, first 2 shown]
	v_pk_add_f32 v[214:215], v[214:215], v[104:105]
	v_pk_add_f32 v[154:155], v[154:155], v[104:105]
	;; [unrolled: 1-line block ×3, first 2 shown]
	v_pk_fma_f32 v[106:107], v[210:211], s[2:3], v[112:113] op_sel_hi:[1,0,1]
	v_pk_fma_f32 v[186:187], v[210:211], s[2:3], v[186:187] op_sel_hi:[1,0,1]
	v_pk_add_f32 v[112:113], v[104:105], v[106:107] neg_lo:[0,1] neg_hi:[0,1]
	v_pk_add_f32 v[104:105], v[104:105], v[106:107]
	v_mov_b32_e32 v106, v112
	v_mov_b32_e32 v107, v105
	ds_write_b64 v184, v[106:107] offset:5688
	v_mov_b32_e32 v106, v110
	v_mov_b32_e32 v107, v134
	;; [unrolled: 1-line block ×4, first 2 shown]
	v_pk_add_f32 v[188:189], v[154:155], v[186:187]
	v_pk_add_f32 v[154:155], v[154:155], v[186:187] neg_lo:[0,1] neg_hi:[0,1]
	v_mov_b32_e32 v105, v113
	v_pk_fma_f32 v[106:107], v[206:207], v[106:107], v[242:243] neg_lo:[0,0,1] neg_hi:[0,0,1]
	v_pk_fma_f32 v[112:113], v[206:207], v[110:111], v[242:243]
	v_pk_fma_f32 v[114:115], v[180:181], v[114:115], v[182:183] neg_lo:[0,0,1] neg_hi:[0,0,1]
	v_pk_fma_f32 v[152:153], v[180:181], v[128:129], v[182:183]
	v_mov_b32_e32 v186, v188
	v_mov_b32_e32 v187, v155
	v_mov_b32_e32 v155, v189
	v_mov_b32_e32 v113, v107
	v_mov_b32_e32 v153, v115
	ds_write_b64 v184, v[186:187] offset:3960
	ds_write_b64 v184, v[154:155] offset:9144
	v_pk_add_f32 v[154:155], v[146:147], v[192:193]
	v_pk_add_f32 v[186:187], v[112:113], v[152:153]
	v_mov_b32_e32 v196, v227
	v_pk_add_f32 v[180:181], v[146:147], v[192:193] neg_lo:[0,1] neg_hi:[0,1]
	v_pk_add_f32 v[188:189], v[196:197], v[202:203]
	v_pk_add_f32 v[192:193], v[172:173], v[176:177]
	v_mov_b32_e32 v114, v115
	v_mov_b32_e32 v115, v186
	;; [unrolled: 1-line block ×4, first 2 shown]
	v_pk_add_f32 v[106:107], v[114:115], v[106:107]
	v_pk_add_f32 v[114:115], v[192:193], v[188:189]
	v_pk_add_f32 v[112:113], v[112:113], v[152:153] neg_lo:[0,1] neg_hi:[0,1]
	v_mov_b32_e32 v147, v172
	v_mov_b32_e32 v146, v189
	;; [unrolled: 1-line block ×6, first 2 shown]
	v_pk_add_f32 v[114:115], v[114:115], v[106:107]
	v_pk_add_f32 v[172:173], v[146:147], v[152:153] neg_lo:[0,1] neg_hi:[0,1]
	v_pk_add_f32 v[146:147], v[148:149], v[114:115]
	v_mov_b32_e32 v148, v180
	v_mov_b32_e32 v149, v113
	v_pk_add_f32 v[176:177], v[148:149], v[172:173] neg_lo:[0,1] neg_hi:[0,1]
	v_mov_b32_e32 v148, v172
	v_mov_b32_e32 v149, v181
	v_pk_add_f32 v[148:149], v[148:149], v[112:113] neg_lo:[0,1] neg_hi:[0,1]
	v_mov_b32_e32 v107, v186
	v_pk_mul_f32 v[194:195], v[148:149], s[24:25]
	v_pk_add_f32 v[148:149], v[112:113], v[172:173]
	v_pk_fma_f32 v[114:115], v[114:115], s[18:19], v[146:147] op_sel_hi:[1,0,1] neg_lo:[1,0,0] neg_hi:[1,0,0]
	v_pk_add_f32 v[196:197], v[148:149], v[180:181]
	v_mov_b32_e32 v148, v106
	v_mov_b32_e32 v149, v154
	v_pk_add_f32 v[148:149], v[148:149], v[192:193] neg_lo:[0,1] neg_hi:[0,1]
	v_pk_add_f32 v[106:107], v[188:189], v[106:107] neg_lo:[0,1] neg_hi:[0,1]
	v_pk_mul_f32 v[198:199], v[148:149], s[22:23]
	v_pk_fma_f32 v[152:153], v[176:177], s[16:17], v[194:195]
	v_pk_fma_f32 v[148:149], v[106:107], s[14:15], v[198:199]
	v_pk_fma_f32 v[216:217], v[210:211], s[2:3], v[216:217] op_sel_hi:[1,0,1]
	v_pk_add_f32 v[148:149], v[148:149], v[114:115]
	v_pk_fma_f32 v[152:153], v[196:197], s[2:3], v[152:153] op_sel_hi:[1,0,1]
	v_pk_add_f32 v[218:219], v[214:215], v[216:217]
	v_pk_add_f32 v[214:215], v[214:215], v[216:217] neg_lo:[0,1] neg_hi:[0,1]
	v_pk_add_f32 v[182:183], v[148:149], v[152:153]
	v_pk_add_f32 v[200:201], v[148:149], v[152:153] neg_lo:[0,1] neg_hi:[0,1]
	ds_write_b64 v184, v[104:105] offset:7416
	v_mov_b32_e32 v104, v218
	v_mov_b32_e32 v105, v215
	;; [unrolled: 1-line block ×3, first 2 shown]
	ds_write_b64 v184, v[146:147] offset:1008
	v_mov_b32_e32 v146, v182
	v_mov_b32_e32 v147, v201
	v_add_u32_e32 v182, 0x800, v184
	ds_write_b64 v184, v[214:215] offset:10872
	ds_write2_b64 v182, v[104:105], v[146:147] offset0:23 offset1:86
	v_pk_add_f32 v[104:105], v[162:163], v[158:159]
	v_mov_b32_e32 v152, v160
	v_mov_b32_e32 v153, v105
	;; [unrolled: 1-line block ×3, first 2 shown]
	v_pk_add_f32 v[146:147], v[166:167], v[164:165] op_sel:[1,1] op_sel_hi:[0,0]
	v_pk_add_f32 v[104:105], v[152:153], v[104:105]
	v_pk_add_f32 v[148:149], v[162:163], v[158:159] neg_lo:[0,1] neg_hi:[0,1]
	v_pk_add_f32 v[152:153], v[146:147], v[156:157] op_sel:[0,1] op_sel_hi:[1,0]
	v_pk_add_f32 v[146:147], v[144:145], v[104:105]
	v_pk_fma_f32 v[144:145], v[224:225], s[10:11], v[150:151] op_sel_hi:[1,0,1] neg_lo:[0,0,1] neg_hi:[0,0,1]
	v_pk_fma_f32 v[150:151], v[148:149], s[20:21], v[178:179] op_sel_hi:[1,0,1] neg_lo:[0,0,1] neg_hi:[0,0,1]
	;; [unrolled: 1-line block ×4, first 2 shown]
	v_pk_add_f32 v[150:151], v[150:151], v[104:105]
	v_pk_fma_f32 v[178:179], v[152:153], s[2:3], v[144:145] op_sel_hi:[1,0,1]
	v_pk_add_f32 v[160:161], v[170:171], v[104:105]
	v_pk_add_f32 v[148:149], v[148:149], v[104:105]
	v_pk_fma_f32 v[104:105], v[152:153], s[2:3], v[222:223] op_sel_hi:[1,0,1]
	v_pk_fma_f32 v[152:153], v[152:153], s[2:3], v[174:175] op_sel_hi:[1,0,1]
	v_pk_add_f32 v[156:157], v[150:151], v[178:179] neg_lo:[0,1] neg_hi:[0,1]
	v_pk_add_f32 v[144:145], v[150:151], v[178:179]
	v_mov_b32_e32 v156, v179
	v_mov_b32_e32 v145, v157
	;; [unrolled: 1-line block ×8, first 2 shown]
	v_pk_mul_f32 v[154:155], v[176:177], s[16:17]
	v_pk_mul_f32 v[106:107], v[106:107], s[14:15]
	v_pk_add_f32 v[156:157], v[156:157], v[158:159]
	v_pk_add_f32 v[158:159], v[160:161], v[104:105] neg_lo:[0,1] neg_hi:[0,1]
	v_pk_add_f32 v[160:161], v[160:161], v[104:105]
	v_pk_add_f32 v[104:105], v[112:113], v[180:181] neg_lo:[0,1] neg_hi:[0,1]
	v_pk_add_f32 v[112:113], v[192:193], v[188:189] neg_lo:[0,1] neg_hi:[0,1]
	v_mov_b32_e32 v163, v199
	v_mov_b32_e32 v164, v154
	;; [unrolled: 1-line block ×6, first 2 shown]
	v_pk_fma_f32 v[164:165], v[104:105], s[10:11], v[164:165] op_sel_hi:[1,0,1] neg_lo:[1,0,1] neg_hi:[1,0,1]
	v_pk_fma_f32 v[106:107], v[112:113], s[20:21], v[198:199] op_sel_hi:[1,0,1] neg_lo:[0,0,1] neg_hi:[0,0,1]
	;; [unrolled: 1-line block ×3, first 2 shown]
	v_pk_add_f32 v[106:107], v[106:107], v[114:115]
	v_pk_fma_f32 v[104:105], v[196:197], s[2:3], v[104:105] op_sel_hi:[1,0,1]
	v_pk_fma_f32 v[162:163], v[112:113], s[20:21], v[162:163] op_sel_hi:[1,0,1] neg_lo:[1,0,1] neg_hi:[1,0,1]
	v_pk_add_f32 v[112:113], v[106:107], v[104:105] neg_lo:[0,1] neg_hi:[0,1]
	v_pk_add_f32 v[104:105], v[106:107], v[104:105]
	v_accvgpr_read_b32 v0, a81
	v_mov_b32_e32 v107, v105
	v_mov_b32_e32 v105, v113
	ds_write_b64 v184, v[104:105] offset:7920
	v_lshlrev_b32_e32 v243, 3, v0
	v_accvgpr_read_b32 v0, a71
	v_accvgpr_read_b32 v105, a67
	v_lshlrev_b32_e32 v242, 4, v0
	v_accvgpr_read_b32 v0, a73
	v_accvgpr_read_b32 v104, a66
	v_accvgpr_mov_b32 a73, a72
	v_accvgpr_mov_b32 a66, a72
	;; [unrolled: 1-line block ×4, first 2 shown]
	v_accvgpr_read_b32 v247, a65
	v_accvgpr_mov_b32 a73, a93
	v_accvgpr_mov_b32 a92, a96
	v_accvgpr_read_b32 v246, a64
	v_accvgpr_mov_b32 a71, a70
	v_accvgpr_mov_b32 a64, a70
	;; [unrolled: 1-line block ×20, first 2 shown]
	v_accvgpr_read_b32 v221, a103
	v_accvgpr_mov_b32 a119, a169
	v_accvgpr_mov_b32 a168, a174
	;; [unrolled: 1-line block ×4, first 2 shown]
	v_accvgpr_read_b32 v220, a102
	v_accvgpr_mov_b32 a102, a104
	v_accvgpr_mov_b32 a169, a175
	;; [unrolled: 1-line block ×17, first 2 shown]
	v_pk_add_f32 v[162:163], v[162:163], v[114:115]
	v_pk_fma_f32 v[164:165], v[196:197], s[2:3], v[164:165] op_sel_hi:[1,0,1]
	v_accvgpr_mov_b32 a113, a167
	v_accvgpr_mov_b32 a166, a172
	;; [unrolled: 1-line block ×6, first 2 shown]
	v_pk_add_f32 v[166:167], v[162:163], v[164:165]
	v_pk_add_f32 v[162:163], v[162:163], v[164:165] neg_lo:[0,1] neg_hi:[0,1]
	v_mov_b32_e32 v168, v104
	v_mov_b32_e32 v169, v104
	v_accvgpr_read_b32 v241, a63
	v_mov_b32_e32 v104, v105
	v_accvgpr_mov_b32 a167, a173
	v_accvgpr_mov_b32 a172, a180
	;; [unrolled: 1-line block ×6, first 2 shown]
	v_mov_b32_e32 v164, v166
	v_mov_b32_e32 v165, v163
	;; [unrolled: 1-line block ×3, first 2 shown]
	v_accvgpr_read_b32 v240, a62
	v_accvgpr_write_b32 a62, v104
	v_accvgpr_mov_b32 a173, a181
	v_accvgpr_mov_b32 a180, a188
	;; [unrolled: 1-line block ×6, first 2 shown]
	v_mov_b32_e32 v151, v148
	v_mov_b32_e32 v179, v152
	ds_write_b64 v184, v[164:165] offset:4464
	v_mov_b32_e32 v106, v112
	ds_write_b64 v184, v[162:163] offset:9648
	v_mov_b32_e32 v201, v183
	v_lshlrev_b32_e32 v197, 4, v0
	v_lshlrev_b32_e32 v196, 4, v185
	v_mov_b32_e32 v174, v220
	v_mov_b32_e32 v175, v220
	;; [unrolled: 1-line block ×9, first 2 shown]
	v_accvgpr_read_b32 v186, a154
	v_accvgpr_read_b32 v187, a154
	v_mov_b32_e32 v220, v221
	v_mov_b32_e32 v170, v246
	;; [unrolled: 1-line block ×8, first 2 shown]
	v_accvgpr_mov_b32 a81, a80
	v_mov_b32_e32 v246, v247
	v_accvgpr_write_b32 a63, v105
	v_mov_b32_e32 v244, v20
	v_mov_b32_e32 v245, v20
	v_mov_b32_e32 v240, v241
	v_mov_b32_e32 v4, v5
	v_mov_b32_e32 v7, v6
	v_mov_b32_e32 v0, v1
	v_mov_b32_e32 v3, v2
	v_mov_b32_e32 v20, v21
	v_mov_b32_e32 v28, v29
	v_mov_b32_e32 v24, v25
	v_accvgpr_mov_b32 a181, a189
	v_accvgpr_write_b32 a188, v56
	v_accvgpr_write_b32 a189, v56
	v_mov_b32_e32 v56, v57
	v_mov_b32_e32 v162, v80
	;; [unrolled: 1-line block ×4, first 2 shown]
	v_accvgpr_write_b32 a218, v72
	v_accvgpr_write_b32 a219, v72
	v_mov_b32_e32 v72, v73
	v_accvgpr_write_b32 a216, v76
	v_accvgpr_write_b32 a217, v76
	v_mov_b32_e32 v76, v77
	v_accvgpr_mov_b32 a221, a225
	v_accvgpr_mov_b32 a223, a229
	v_pk_add_f32 v[150:151], v[150:151], v[178:179] neg_lo:[0,1] neg_hi:[0,1]
	ds_write_b64 v184, v[106:107] offset:6192
	ds_write_b64 v184, v[200:201] offset:11376
	s_and_saveexec_b64 s[2:3], vcc
	s_cbranch_execz .LBB0_5
; %bb.4:
	v_pk_add_f32 v[104:105], v[148:149], v[152:153]
	v_pk_add_f32 v[106:107], v[148:149], v[152:153] neg_lo:[0,1] neg_hi:[0,1]
	v_mov_b32_e32 v112, v160
	v_mov_b32_e32 v113, v159
	v_add_u32_e32 v105, 0x500, v184
	ds_write2_b64 v105, v[146:147], v[112:113] offset0:29 offset1:245
	v_mov_b32_e32 v105, v107
	v_mov_b32_e32 v106, v150
	;; [unrolled: 1-line block ×3, first 2 shown]
	v_add_u32_e32 v112, 0x1300, v184
	ds_write2_b64 v112, v[104:105], v[106:107] offset0:13 offset1:229
	v_mov_b32_e32 v104, v151
	v_mov_b32_e32 v105, v157
	v_add_u32_e32 v106, 0x2000, v184
	v_mov_b32_e32 v159, v161
	ds_write2_b64 v106, v[144:145], v[104:105] offset0:29 offset1:245
	ds_write_b64 v184, v[158:159] offset:11880
.LBB0_5:
	s_or_b64 exec, exec, s[2:3]
	v_lshlrev_b32_e32 v104, 3, v204
	v_mov_b32_e32 v105, 0
	v_lshl_add_u64 v[104:105], s[8:9], 0, v[104:105]
	s_mov_b64 s[2:3], 0x2f40
	v_lshl_add_u64 v[106:107], v[104:105], 0, s[2:3]
	s_movk_i32 s2, 0x2000
	v_add_co_u32_e64 v112, s[2:3], s2, v104
	s_waitcnt lgkmcnt(0)
	s_nop 0
	v_addc_co_u32_e64 v113, s[2:3], 0, v105, s[2:3]
	; wave barrier
	global_load_dwordx2 v[112:113], v[112:113], off offset:3904
	ds_read2_b64 v[146:149], v184 offset1:63
	s_movk_i32 s2, 0x4000
	v_add_co_u32_e64 v180, s[2:3], s2, v104
	v_add_u32_e32 v159, 0x1400, v184
	s_nop 0
	v_addc_co_u32_e64 v181, s[2:3], 0, v105, s[2:3]
	v_add_u32_e32 v160, 0x1800, v184
	v_add_u32_e32 v189, 0x400, v184
	;; [unrolled: 1-line block ×3, first 2 shown]
	s_movk_i32 s2, 0x5000
	v_add_u32_e32 v188, 0x2000, v184
	v_add_u32_e32 v193, 0xc00, v184
	;; [unrolled: 1-line block ×5, first 2 shown]
	v_accvgpr_read_b32 v185, a86
	s_waitcnt vmcnt(0) lgkmcnt(0)
	v_mul_f32_e32 v114, v147, v113
	v_mul_f32_e32 v115, v146, v113
	v_fma_f32 v114, v146, v112, -v114
	v_fmac_f32_e32 v115, v147, v112
	global_load_dwordx2 v[112:113], v[180:181], off offset:1760
	ds_write_b64 v184, v[114:115]
	ds_read2_b64 v[152:155], v159 offset0:116 offset1:179
	s_waitcnt vmcnt(0) lgkmcnt(0)
	v_mul_f32_e32 v114, v153, v113
	v_mul_f32_e32 v179, v152, v113
	v_fma_f32 v178, v152, v112, -v114
	v_fmac_f32_e32 v179, v153, v112
	global_load_dwordx2 v[112:113], v[106:107], off offset:504
	s_waitcnt vmcnt(0)
	v_mul_f32_e32 v114, v149, v113
	v_mul_f32_e32 v115, v148, v113
	v_fma_f32 v114, v148, v112, -v114
	v_fmac_f32_e32 v115, v149, v112
	global_load_dwordx2 v[112:113], v[180:181], off offset:2264
	s_waitcnt vmcnt(0)
	v_mul_f32_e32 v146, v155, v113
	v_mul_f32_e32 v177, v154, v113
	v_fma_f32 v176, v154, v112, -v146
	v_fmac_f32_e32 v177, v155, v112
	global_load_dwordx2 v[112:113], v[106:107], off offset:1008
	ds_read2_b64 v[146:149], v184 offset0:126 offset1:189
	s_waitcnt vmcnt(0) lgkmcnt(0)
	v_mul_f32_e32 v152, v147, v113
	v_mul_f32_e32 v153, v146, v113
	v_fma_f32 v152, v146, v112, -v152
	v_fmac_f32_e32 v153, v147, v112
	global_load_dwordx2 v[112:113], v[180:181], off offset:2768
	ds_write2_b64 v184, v[114:115], v[152:153] offset0:63 offset1:126
	ds_read2_b64 v[152:155], v160 offset0:114 offset1:177
	s_waitcnt vmcnt(0) lgkmcnt(0)
	v_mul_f32_e32 v114, v153, v113
	v_mul_f32_e32 v115, v152, v113
	v_fma_f32 v114, v152, v112, -v114
	v_fmac_f32_e32 v115, v153, v112
	global_load_dwordx2 v[112:113], v[106:107], off offset:1512
	ds_write2_b64 v160, v[176:177], v[114:115] offset0:51 offset1:114
	s_waitcnt vmcnt(0)
	v_mul_f32_e32 v114, v149, v113
	v_mul_f32_e32 v115, v148, v113
	v_fma_f32 v114, v148, v112, -v114
	v_fmac_f32_e32 v115, v149, v112
	global_load_dwordx2 v[112:113], v[180:181], off offset:3272
	s_waitcnt vmcnt(0)
	v_mul_f32_e32 v146, v155, v113
	v_mul_f32_e32 v177, v154, v113
	v_fma_f32 v176, v154, v112, -v146
	v_fmac_f32_e32 v177, v155, v112
	global_load_dwordx2 v[112:113], v[106:107], off offset:2016
	ds_read2_b64 v[146:149], v189 offset0:124 offset1:187
	s_waitcnt vmcnt(0) lgkmcnt(0)
	v_mul_f32_e32 v152, v147, v113
	v_mul_f32_e32 v153, v146, v113
	v_fma_f32 v152, v146, v112, -v152
	v_fmac_f32_e32 v153, v147, v112
	global_load_dwordx2 v[112:113], v[180:181], off offset:3776
	ds_write2_b64 v184, v[114:115], v[152:153] offset0:189 offset1:252
	ds_read2_b64 v[152:155], v183 offset0:112 offset1:175
	s_waitcnt vmcnt(0) lgkmcnt(0)
	v_mul_f32_e32 v114, v153, v113
	v_mul_f32_e32 v115, v152, v113
	v_fma_f32 v114, v152, v112, -v114
	v_fmac_f32_e32 v115, v153, v112
	ds_write2_b64 v160, v[176:177], v[114:115] offset0:177 offset1:240
	v_add_co_u32_e64 v176, s[2:3], s2, v104
	global_load_dwordx2 v[112:113], v[106:107], off offset:2520
	s_nop 0
	v_addc_co_u32_e64 v177, s[2:3], 0, v105, s[2:3]
	global_load_dwordx2 v[104:105], v[176:177], off offset:184
	s_mov_b32 s2, 0x3f5db3d7
	s_waitcnt vmcnt(1)
	v_mul_f32_e32 v114, v149, v113
	v_mul_f32_e32 v115, v148, v113
	v_fma_f32 v114, v148, v112, -v114
	v_fmac_f32_e32 v115, v149, v112
	s_waitcnt vmcnt(0)
	v_mul_f32_e32 v112, v155, v105
	v_mul_f32_e32 v113, v154, v105
	v_fma_f32 v112, v154, v104, -v112
	v_fmac_f32_e32 v113, v155, v104
	global_load_dwordx2 v[104:105], v[106:107], off offset:3024
	ds_read2_b64 v[146:149], v182 offset0:122 offset1:185
	s_waitcnt vmcnt(0) lgkmcnt(0)
	v_mul_f32_e32 v152, v147, v105
	v_mul_f32_e32 v153, v146, v105
	v_fma_f32 v152, v146, v104, -v152
	v_fmac_f32_e32 v153, v147, v104
	global_load_dwordx2 v[104:105], v[176:177], off offset:688
	ds_write2_b64 v182, v[114:115], v[152:153] offset0:59 offset1:122
	ds_read2_b64 v[152:155], v188 offset0:110 offset1:173
	s_waitcnt vmcnt(0) lgkmcnt(0)
	v_mul_f32_e32 v114, v153, v105
	v_mul_f32_e32 v115, v152, v105
	v_fma_f32 v114, v152, v104, -v114
	v_fmac_f32_e32 v115, v153, v104
	global_load_dwordx2 v[104:105], v[106:107], off offset:3528
	ds_write2_b64 v188, v[112:113], v[114:115] offset0:47 offset1:110
	s_waitcnt vmcnt(0)
	v_mul_f32_e32 v112, v149, v105
	v_mul_f32_e32 v113, v148, v105
	v_fma_f32 v112, v148, v104, -v112
	v_fmac_f32_e32 v113, v149, v104
	global_load_dwordx2 v[104:105], v[176:177], off offset:1192
	ds_read2_b64 v[146:149], v193 offset0:120 offset1:183
	s_waitcnt vmcnt(0)
	v_mul_f32_e32 v114, v155, v105
	v_mul_f32_e32 v115, v154, v105
	v_fma_f32 v114, v154, v104, -v114
	v_fmac_f32_e32 v115, v155, v104
	global_load_dwordx2 v[104:105], v[106:107], off offset:4032
	ds_read2_b64 v[152:155], v192 offset0:108 offset1:171
	s_waitcnt vmcnt(0) lgkmcnt(1)
	v_mul_f32_e32 v106, v147, v105
	v_mul_f32_e32 v107, v146, v105
	v_fma_f32 v106, v146, v104, -v106
	v_fmac_f32_e32 v107, v147, v104
	global_load_dwordx2 v[104:105], v[176:177], off offset:1696
	ds_write2_b64 v182, v[112:113], v[106:107] offset0:185 offset1:248
	s_waitcnt vmcnt(0) lgkmcnt(1)
	v_mul_f32_e32 v106, v153, v105
	v_mul_f32_e32 v107, v152, v105
	v_fma_f32 v106, v152, v104, -v106
	v_fmac_f32_e32 v107, v153, v104
	global_load_dwordx2 v[104:105], v[180:181], off offset:248
	ds_write2_b64 v188, v[114:115], v[106:107] offset0:173 offset1:236
	s_waitcnt vmcnt(0)
	v_mul_f32_e32 v106, v149, v105
	v_mul_f32_e32 v107, v148, v105
	v_fma_f32 v106, v148, v104, -v106
	v_fmac_f32_e32 v107, v149, v104
	global_load_dwordx2 v[104:105], v[176:177], off offset:2200
	ds_read2_b64 v[146:149], v195 offset0:106 offset1:169
	s_waitcnt vmcnt(0)
	v_mul_f32_e32 v112, v155, v105
	v_mul_f32_e32 v113, v154, v105
	v_fma_f32 v112, v154, v104, -v112
	v_fmac_f32_e32 v113, v155, v104
	global_load_dwordx2 v[104:105], v[180:181], off offset:752
	ds_read2_b64 v[152:155], v194 offset0:118 offset1:181
	s_waitcnt vmcnt(0) lgkmcnt(0)
	v_mul_f32_e32 v114, v153, v105
	v_mul_f32_e32 v115, v152, v105
	v_fma_f32 v114, v152, v104, -v114
	v_fmac_f32_e32 v115, v153, v104
	global_load_dwordx2 v[104:105], v[176:177], off offset:2704
	ds_write2_b64 v194, v[106:107], v[114:115] offset0:55 offset1:118
	s_waitcnt vmcnt(0)
	v_mul_f32_e32 v106, v147, v105
	v_mul_f32_e32 v107, v146, v105
	v_fma_f32 v106, v146, v104, -v106
	v_fmac_f32_e32 v107, v147, v104
	global_load_dwordx2 v[104:105], v[180:181], off offset:1256
	ds_write2_b64 v195, v[112:113], v[106:107] offset0:43 offset1:106
	v_accvgpr_read_b32 v112, a160
	v_accvgpr_read_b32 v113, a161
	s_waitcnt vmcnt(0)
	v_mul_f32_e32 v106, v155, v105
	v_mul_f32_e32 v107, v154, v105
	v_fma_f32 v106, v154, v104, -v106
	v_fmac_f32_e32 v107, v155, v104
	global_load_dwordx2 v[104:105], v[176:177], off offset:3208
	ds_write2_b64 v194, v[106:107], v[178:179] offset0:181 offset1:244
	s_waitcnt vmcnt(0)
	v_mul_f32_e32 v106, v149, v105
	v_mul_f32_e32 v107, v148, v105
	v_fma_f32 v106, v148, v104, -v106
	v_fmac_f32_e32 v107, v149, v104
	ds_write_b64 v184, v[106:107] offset:11592
	s_waitcnt lgkmcnt(0)
	; wave barrier
	s_waitcnt lgkmcnt(0)
	ds_read2_b64 v[146:149], v184 offset1:63
	ds_read2_b64 v[152:155], v159 offset0:116 offset1:179
	v_accvgpr_read_b32 v104, a147
	s_waitcnt lgkmcnt(0)
	v_pk_add_f32 v[178:179], v[146:147], v[152:153] neg_lo:[0,1] neg_hi:[0,1]
	v_pk_add_f32 v[154:155], v[148:149], v[154:155] neg_lo:[0,1] neg_hi:[0,1]
	v_pk_fma_f32 v[176:177], v[146:147], 2.0, v[178:179] op_sel_hi:[1,0,1] neg_lo:[0,0,1] neg_hi:[0,0,1]
	v_pk_fma_f32 v[152:153], v[148:149], 2.0, v[154:155] op_sel_hi:[1,0,1] neg_lo:[0,0,1] neg_hi:[0,0,1]
	ds_read2_b64 v[146:149], v184 offset0:126 offset1:189
	ds_read2_b64 v[206:209], v160 offset0:114 offset1:177
	s_waitcnt lgkmcnt(0)
	v_pk_add_f32 v[224:225], v[146:147], v[206:207] neg_lo:[0,1] neg_hi:[0,1]
	v_pk_add_f32 v[208:209], v[148:149], v[208:209] neg_lo:[0,1] neg_hi:[0,1]
	v_pk_fma_f32 v[222:223], v[146:147], 2.0, v[224:225] op_sel_hi:[1,0,1] neg_lo:[0,0,1] neg_hi:[0,0,1]
	v_pk_fma_f32 v[206:207], v[148:149], 2.0, v[208:209] op_sel_hi:[1,0,1] neg_lo:[0,0,1] neg_hi:[0,0,1]
	ds_read2_b64 v[146:149], v189 offset0:124 offset1:187
	ds_read2_b64 v[226:229], v183 offset0:112 offset1:175
	;; [unrolled: 7-line block ×5, first 2 shown]
	s_waitcnt lgkmcnt(0)
	; wave barrier
	s_waitcnt lgkmcnt(0)
	ds_write_b128 v104, v[176:179]
	v_accvgpr_read_b32 v104, a155
	ds_write_b128 v104, v[152:155]
	v_accvgpr_read_b32 v104, a148
	;; [unrolled: 2-line block ×6, first 2 shown]
	v_pk_add_f32 v[218:219], v[146:147], v[252:253] neg_lo:[0,1] neg_hi:[0,1]
	v_pk_add_f32 v[254:255], v[148:149], v[254:255] neg_lo:[0,1] neg_hi:[0,1]
	ds_write_b128 v104, v[248:251]
	v_accvgpr_read_b32 v104, a141
	v_pk_fma_f32 v[216:217], v[146:147], 2.0, v[218:219] op_sel_hi:[1,0,1] neg_lo:[0,0,1] neg_hi:[0,0,1]
	v_pk_fma_f32 v[252:253], v[148:149], 2.0, v[254:255] op_sel_hi:[1,0,1] neg_lo:[0,0,1] neg_hi:[0,0,1]
	ds_write_b128 v104, v[234:237]
	ds_write_b128 v243, v[200:203]
	;; [unrolled: 1-line block ×5, first 2 shown]
	s_waitcnt lgkmcnt(0)
	; wave barrier
	s_waitcnt lgkmcnt(0)
	ds_read2_b64 v[176:179], v194 offset0:118 offset1:181
	ds_read2_b64 v[152:155], v195 offset0:106 offset1:169
	v_accvgpr_read_b32 v104, a164
	v_accvgpr_read_b32 v105, a165
	;; [unrolled: 1-line block ×4, first 2 shown]
	s_waitcnt lgkmcnt(0)
	v_pk_mul_f32 v[104:105], v[104:105], v[154:155]
	v_accvgpr_read_b32 v217, a121
	v_pk_fma_f32 v[106:107], v[174:175], v[154:155], v[104:105] op_sel:[0,0,1] op_sel_hi:[1,1,0]
	v_pk_fma_f32 v[104:105], v[174:175], v[154:155], v[104:105] op_sel:[0,0,1] op_sel_hi:[1,1,0] neg_lo:[0,0,1] neg_hi:[0,0,1]
	v_accvgpr_read_b32 v216, a120
	v_mov_b32_e32 v107, v105
	v_pk_add_f32 v[146:147], v[178:179], v[106:107] neg_lo:[0,1] neg_hi:[0,1]
	v_pk_mul_f32 v[104:105], v[190:191], v[152:153]
	v_pk_fma_f32 v[148:149], v[178:179], 2.0, v[146:147] op_sel_hi:[1,0,1] neg_lo:[0,0,1] neg_hi:[0,0,1]
	ds_read2_b64 v[200:203], v193 offset0:120 offset1:183
	ds_read2_b64 v[178:181], v192 offset0:108 offset1:171
	v_pk_fma_f32 v[106:107], v[172:173], v[152:153], v[104:105] op_sel:[0,0,1] op_sel_hi:[1,1,0]
	v_pk_fma_f32 v[104:105], v[172:173], v[152:153], v[104:105] op_sel:[0,0,1] op_sel_hi:[1,1,0] neg_lo:[0,0,1] neg_hi:[0,0,1]
	v_accvgpr_read_b32 v225, a107
	v_mov_b32_e32 v107, v105
	v_accvgpr_read_b32 v104, a162
	v_accvgpr_read_b32 v105, a163
	s_waitcnt lgkmcnt(0)
	v_pk_mul_f32 v[104:105], v[104:105], v[180:181]
	v_pk_add_f32 v[152:153], v[176:177], v[106:107] neg_lo:[0,1] neg_hi:[0,1]
	v_pk_fma_f32 v[106:107], v[112:113], v[180:181], v[104:105] op_sel:[0,0,1] op_sel_hi:[1,1,0]
	v_pk_fma_f32 v[104:105], v[112:113], v[180:181], v[104:105] op_sel:[0,0,1] op_sel_hi:[1,1,0] neg_lo:[0,0,1] neg_hi:[0,0,1]
	v_pk_fma_f32 v[154:155], v[176:177], 2.0, v[152:153] op_sel_hi:[1,0,1] neg_lo:[0,0,1] neg_hi:[0,0,1]
	v_mov_b32_e32 v107, v105
	v_pk_mul_f32 v[104:105], v[190:191], v[178:179]
	v_pk_add_f32 v[174:175], v[202:203], v[106:107] neg_lo:[0,1] neg_hi:[0,1]
	v_pk_fma_f32 v[106:107], v[172:173], v[178:179], v[104:105] op_sel:[0,0,1] op_sel_hi:[1,1,0]
	v_pk_fma_f32 v[104:105], v[172:173], v[178:179], v[104:105] op_sel:[0,0,1] op_sel_hi:[1,1,0] neg_lo:[0,0,1] neg_hi:[0,0,1]
	v_pk_fma_f32 v[176:177], v[202:203], 2.0, v[174:175] op_sel_hi:[1,0,1] neg_lo:[0,0,1] neg_hi:[0,0,1]
	v_mov_b32_e32 v107, v105
	v_pk_add_f32 v[178:179], v[200:201], v[106:107] neg_lo:[0,1] neg_hi:[0,1]
	v_accvgpr_read_b32 v104, a158
	v_pk_fma_f32 v[180:181], v[200:201], 2.0, v[178:179] op_sel_hi:[1,0,1] neg_lo:[0,0,1] neg_hi:[0,0,1]
	ds_read2_b64 v[200:203], v182 offset0:122 offset1:185
	ds_read2_b64 v[206:209], v188 offset0:110 offset1:173
	v_accvgpr_read_b32 v105, a159
	v_accvgpr_read_b32 v224, a106
	s_waitcnt lgkmcnt(0)
	v_pk_mul_f32 v[104:105], v[104:105], v[208:209]
	v_pk_mul_f32 v[112:113], v[190:191], v[206:207]
	v_pk_fma_f32 v[106:107], v[210:211], v[208:209], v[104:105] op_sel:[0,0,1] op_sel_hi:[1,1,0]
	v_pk_fma_f32 v[104:105], v[210:211], v[208:209], v[104:105] op_sel:[0,0,1] op_sel_hi:[1,1,0] neg_lo:[0,0,1] neg_hi:[0,0,1]
	v_pk_fma_f32 v[114:115], v[172:173], v[206:207], v[112:113] op_sel:[0,0,1] op_sel_hi:[1,1,0]
	v_pk_fma_f32 v[112:113], v[172:173], v[206:207], v[112:113] op_sel:[0,0,1] op_sel_hi:[1,1,0] neg_lo:[0,0,1] neg_hi:[0,0,1]
	v_mov_b32_e32 v107, v105
	v_mov_b32_e32 v115, v113
	v_pk_add_f32 v[104:105], v[202:203], v[106:107] neg_lo:[0,1] neg_hi:[0,1]
	v_pk_add_f32 v[112:113], v[200:201], v[114:115] neg_lo:[0,1] neg_hi:[0,1]
	v_pk_fma_f32 v[106:107], v[202:203], 2.0, v[104:105] op_sel_hi:[1,0,1] neg_lo:[0,0,1] neg_hi:[0,0,1]
	v_pk_fma_f32 v[114:115], v[200:201], 2.0, v[112:113] op_sel_hi:[1,0,1] neg_lo:[0,0,1] neg_hi:[0,0,1]
	ds_read2_b64 v[200:203], v189 offset0:124 offset1:187
	ds_read2_b64 v[206:209], v183 offset0:112 offset1:175
	s_waitcnt lgkmcnt(0)
	v_pk_mul_f32 v[186:187], v[186:187], v[208:209]
	s_nop 0
	v_pk_fma_f32 v[196:197], v[198:199], v[208:209], v[186:187] op_sel:[0,0,1] op_sel_hi:[1,1,0]
	v_pk_fma_f32 v[186:187], v[198:199], v[208:209], v[186:187] op_sel:[0,0,1] op_sel_hi:[1,1,0] neg_lo:[0,0,1] neg_hi:[0,0,1]
	v_pk_mul_f32 v[198:199], v[190:191], v[206:207]
	v_mov_b32_e32 v197, v187
	v_pk_add_f32 v[186:187], v[202:203], v[196:197] neg_lo:[0,1] neg_hi:[0,1]
	s_nop 0
	v_pk_fma_f32 v[196:197], v[202:203], 2.0, v[186:187] op_sel_hi:[1,0,1] neg_lo:[0,0,1] neg_hi:[0,0,1]
	v_pk_fma_f32 v[202:203], v[172:173], v[206:207], v[198:199] op_sel:[0,0,1] op_sel_hi:[1,1,0]
	v_pk_fma_f32 v[198:199], v[172:173], v[206:207], v[198:199] op_sel:[0,0,1] op_sel_hi:[1,1,0] neg_lo:[0,0,1] neg_hi:[0,0,1]
	s_nop 0
	v_mov_b32_e32 v203, v199
	v_pk_add_f32 v[198:199], v[200:201], v[202:203] neg_lo:[0,1] neg_hi:[0,1]
	s_nop 0
	v_pk_fma_f32 v[210:211], v[200:201], 2.0, v[198:199] op_sel_hi:[1,0,1] neg_lo:[0,0,1] neg_hi:[0,0,1]
	ds_read2_b64 v[200:203], v184 offset0:126 offset1:189
	ds_read2_b64 v[206:209], v160 offset0:114 offset1:177
	s_waitcnt lgkmcnt(0)
	v_pk_mul_f32 v[212:213], v[212:213], v[208:209]
	s_nop 0
	v_pk_fma_f32 v[214:215], v[216:217], v[208:209], v[212:213] op_sel:[0,0,1] op_sel_hi:[1,1,0]
	v_pk_fma_f32 v[208:209], v[216:217], v[208:209], v[212:213] op_sel:[0,0,1] op_sel_hi:[1,1,0] neg_lo:[0,0,1] neg_hi:[0,0,1]
	s_nop 0
	v_mov_b32_e32 v215, v209
	v_pk_add_f32 v[212:213], v[202:203], v[214:215] neg_lo:[0,1] neg_hi:[0,1]
	s_nop 0
	v_pk_fma_f32 v[214:215], v[202:203], 2.0, v[212:213] op_sel_hi:[1,0,1] neg_lo:[0,0,1] neg_hi:[0,0,1]
	v_pk_mul_f32 v[202:203], v[190:191], v[206:207]
	s_nop 0
	v_pk_fma_f32 v[208:209], v[172:173], v[206:207], v[202:203] op_sel:[0,0,1] op_sel_hi:[1,1,0]
	v_pk_fma_f32 v[202:203], v[172:173], v[206:207], v[202:203] op_sel:[0,0,1] op_sel_hi:[1,1,0] neg_lo:[0,0,1] neg_hi:[0,0,1]
	s_nop 0
	v_mov_b32_e32 v209, v203
	v_pk_add_f32 v[216:217], v[200:201], v[208:209] neg_lo:[0,1] neg_hi:[0,1]
	s_nop 0
	v_pk_fma_f32 v[218:219], v[200:201], 2.0, v[216:217] op_sel_hi:[1,0,1] neg_lo:[0,0,1] neg_hi:[0,0,1]
	ds_read2_b64 v[200:203], v184 offset1:63
	ds_read2_b64 v[206:209], v159 offset0:116 offset1:179
	s_waitcnt lgkmcnt(0)
	; wave barrier
	s_waitcnt lgkmcnt(0)
	v_pk_mul_f32 v[220:221], v[220:221], v[208:209]
	v_pk_mul_f32 v[190:191], v[190:191], v[206:207]
	v_pk_fma_f32 v[222:223], v[224:225], v[208:209], v[220:221] op_sel:[0,0,1] op_sel_hi:[1,1,0]
	v_pk_fma_f32 v[208:209], v[224:225], v[208:209], v[220:221] op_sel:[0,0,1] op_sel_hi:[1,1,0] neg_lo:[0,0,1] neg_hi:[0,0,1]
	v_pk_fma_f32 v[220:221], v[172:173], v[206:207], v[190:191] op_sel:[0,0,1] op_sel_hi:[1,1,0]
	v_pk_fma_f32 v[172:173], v[172:173], v[206:207], v[190:191] op_sel:[0,0,1] op_sel_hi:[1,1,0] neg_lo:[0,0,1] neg_hi:[0,0,1]
	v_mov_b32_e32 v223, v209
	v_mov_b32_e32 v221, v173
	v_pk_add_f32 v[172:173], v[200:201], v[220:221] neg_lo:[0,1] neg_hi:[0,1]
	v_pk_add_f32 v[208:209], v[202:203], v[222:223] neg_lo:[0,1] neg_hi:[0,1]
	v_pk_fma_f32 v[190:191], v[200:201], 2.0, v[172:173] op_sel_hi:[1,0,1] neg_lo:[0,0,1] neg_hi:[0,0,1]
	v_pk_fma_f32 v[202:203], v[202:203], 2.0, v[208:209] op_sel_hi:[1,0,1] neg_lo:[0,0,1] neg_hi:[0,0,1]
	ds_write2_b64 v185, v[190:191], v[172:173] offset1:2
	v_accvgpr_read_b32 v172, a85
	ds_write2_b64 v172, v[202:203], v[208:209] offset1:2
	v_accvgpr_read_b32 v172, a84
	;; [unrolled: 2-line block ×11, first 2 shown]
	ds_write2_b64 v104, v[148:149], v[146:147] offset1:2
	s_waitcnt lgkmcnt(0)
	; wave barrier
	s_waitcnt lgkmcnt(0)
	ds_read2_b64 v[172:175], v194 offset0:118 offset1:181
	ds_read2_b64 v[152:155], v195 offset0:106 offset1:169
	v_accvgpr_read_b32 v104, a142
	v_accvgpr_read_b32 v105, a143
	v_accvgpr_read_b32 v113, a89
	v_accvgpr_read_b32 v112, a88
	s_waitcnt lgkmcnt(0)
	v_pk_mul_f32 v[104:105], v[104:105], v[154:155]
	v_accvgpr_read_b32 v207, a67
	v_pk_fma_f32 v[106:107], v[170:171], v[154:155], v[104:105] op_sel:[0,0,1] op_sel_hi:[1,1,0]
	v_pk_fma_f32 v[104:105], v[170:171], v[154:155], v[104:105] op_sel:[0,0,1] op_sel_hi:[1,1,0] neg_lo:[0,0,1] neg_hi:[0,0,1]
	v_accvgpr_read_b32 v206, a66
	v_mov_b32_e32 v107, v105
	v_accvgpr_read_b32 v104, a150
	v_accvgpr_read_b32 v105, a151
	v_pk_mul_f32 v[104:105], v[104:105], v[152:153]
	v_pk_add_f32 v[146:147], v[174:175], v[106:107] neg_lo:[0,1] neg_hi:[0,1]
	v_pk_fma_f32 v[106:107], v[168:169], v[152:153], v[104:105] op_sel:[0,0,1] op_sel_hi:[1,1,0]
	v_pk_fma_f32 v[104:105], v[168:169], v[152:153], v[104:105] op_sel:[0,0,1] op_sel_hi:[1,1,0] neg_lo:[0,0,1] neg_hi:[0,0,1]
	v_pk_fma_f32 v[148:149], v[174:175], 2.0, v[146:147] op_sel_hi:[1,0,1] neg_lo:[0,0,1] neg_hi:[0,0,1]
	v_mov_b32_e32 v107, v105
	v_pk_add_f32 v[152:153], v[172:173], v[106:107] neg_lo:[0,1] neg_hi:[0,1]
	v_accvgpr_read_b32 v104, a144
	v_pk_fma_f32 v[154:155], v[172:173], 2.0, v[152:153] op_sel_hi:[1,0,1] neg_lo:[0,0,1] neg_hi:[0,0,1]
	ds_read2_b64 v[172:175], v193 offset0:120 offset1:183
	ds_read2_b64 v[176:179], v192 offset0:108 offset1:171
	v_accvgpr_read_b32 v105, a145
	v_accvgpr_read_b32 v185, a60
	s_waitcnt lgkmcnt(0)
	v_pk_mul_f32 v[104:105], v[104:105], v[178:179]
	s_nop 0
	v_pk_fma_f32 v[106:107], v[166:167], v[178:179], v[104:105] op_sel:[0,0,1] op_sel_hi:[1,1,0]
	v_pk_fma_f32 v[104:105], v[166:167], v[178:179], v[104:105] op_sel:[0,0,1] op_sel_hi:[1,1,0] neg_lo:[0,0,1] neg_hi:[0,0,1]
	ds_read2_b64 v[196:199], v182 offset0:122 offset1:185
	ds_read2_b64 v[178:181], v188 offset0:110 offset1:173
	v_mov_b32_e32 v107, v105
	v_pk_mul_f32 v[104:105], v[238:239], v[176:177]
	v_pk_add_f32 v[166:167], v[174:175], v[106:107] neg_lo:[0,1] neg_hi:[0,1]
	v_pk_fma_f32 v[106:107], v[164:165], v[176:177], v[104:105] op_sel:[0,0,1] op_sel_hi:[1,1,0]
	v_pk_fma_f32 v[104:105], v[164:165], v[176:177], v[104:105] op_sel:[0,0,1] op_sel_hi:[1,1,0] neg_lo:[0,0,1] neg_hi:[0,0,1]
	v_pk_fma_f32 v[168:169], v[174:175], 2.0, v[166:167] op_sel_hi:[1,0,1] neg_lo:[0,0,1] neg_hi:[0,0,1]
	v_mov_b32_e32 v107, v105
	v_accvgpr_read_b32 v104, a124
	v_accvgpr_read_b32 v105, a125
	s_waitcnt lgkmcnt(0)
	v_pk_mul_f32 v[104:105], v[104:105], v[180:181]
	v_pk_add_f32 v[170:171], v[172:173], v[106:107] neg_lo:[0,1] neg_hi:[0,1]
	v_pk_fma_f32 v[106:107], v[112:113], v[180:181], v[104:105] op_sel:[0,0,1] op_sel_hi:[1,1,0]
	v_pk_fma_f32 v[104:105], v[112:113], v[180:181], v[104:105] op_sel:[0,0,1] op_sel_hi:[1,1,0] neg_lo:[0,0,1] neg_hi:[0,0,1]
	v_accvgpr_read_b32 v113, a83
	v_mov_b32_e32 v107, v105
	v_accvgpr_read_b32 v104, a114
	v_accvgpr_read_b32 v105, a115
	v_pk_mul_f32 v[104:105], v[104:105], v[178:179]
	v_accvgpr_read_b32 v112, a82
	v_pk_add_f32 v[174:175], v[198:199], v[106:107] neg_lo:[0,1] neg_hi:[0,1]
	v_pk_fma_f32 v[106:107], v[112:113], v[178:179], v[104:105] op_sel:[0,0,1] op_sel_hi:[1,1,0]
	v_pk_fma_f32 v[104:105], v[112:113], v[178:179], v[104:105] op_sel:[0,0,1] op_sel_hi:[1,1,0] neg_lo:[0,0,1] neg_hi:[0,0,1]
	v_pk_fma_f32 v[176:177], v[198:199], 2.0, v[174:175] op_sel_hi:[1,0,1] neg_lo:[0,0,1] neg_hi:[0,0,1]
	v_mov_b32_e32 v107, v105
	v_pk_add_f32 v[178:179], v[196:197], v[106:107] neg_lo:[0,1] neg_hi:[0,1]
	v_accvgpr_read_b32 v105, a101
	v_pk_fma_f32 v[180:181], v[196:197], 2.0, v[178:179] op_sel_hi:[1,0,1] neg_lo:[0,0,1] neg_hi:[0,0,1]
	ds_read2_b64 v[196:199], v189 offset0:124 offset1:187
	ds_read2_b64 v[200:203], v183 offset0:112 offset1:175
	v_accvgpr_read_b32 v104, a100
	v_accvgpr_read_b32 v113, a81
	;; [unrolled: 1-line block ×3, first 2 shown]
	v_pk_fma_f32 v[172:173], v[172:173], 2.0, v[170:171] op_sel_hi:[1,0,1] neg_lo:[0,0,1] neg_hi:[0,0,1]
	s_waitcnt lgkmcnt(0)
	v_pk_mul_f32 v[104:105], v[104:105], v[202:203]
	s_nop 0
	v_pk_fma_f32 v[106:107], v[112:113], v[202:203], v[104:105] op_sel:[0,0,1] op_sel_hi:[1,1,0]
	v_pk_fma_f32 v[104:105], v[112:113], v[202:203], v[104:105] op_sel:[0,0,1] op_sel_hi:[1,1,0] neg_lo:[0,0,1] neg_hi:[0,0,1]
	v_pk_mul_f32 v[112:113], v[238:239], v[200:201]
	v_mov_b32_e32 v107, v105
	v_pk_fma_f32 v[114:115], v[164:165], v[200:201], v[112:113] op_sel:[0,0,1] op_sel_hi:[1,1,0]
	v_pk_fma_f32 v[112:113], v[164:165], v[200:201], v[112:113] op_sel:[0,0,1] op_sel_hi:[1,1,0] neg_lo:[0,0,1] neg_hi:[0,0,1]
	v_pk_add_f32 v[104:105], v[198:199], v[106:107] neg_lo:[0,1] neg_hi:[0,1]
	v_mov_b32_e32 v115, v113
	v_pk_add_f32 v[112:113], v[196:197], v[114:115] neg_lo:[0,1] neg_hi:[0,1]
	v_pk_fma_f32 v[106:107], v[198:199], 2.0, v[104:105] op_sel_hi:[1,0,1] neg_lo:[0,0,1] neg_hi:[0,0,1]
	v_pk_fma_f32 v[114:115], v[196:197], 2.0, v[112:113] op_sel_hi:[1,0,1] neg_lo:[0,0,1] neg_hi:[0,0,1]
	ds_read2_b64 v[196:199], v184 offset0:126 offset1:189
	ds_read2_b64 v[200:203], v160 offset0:114 offset1:177
	s_waitcnt lgkmcnt(0)
	v_pk_mul_f32 v[186:187], v[246:247], v[202:203]
	s_nop 0
	v_pk_fma_f32 v[190:191], v[206:207], v[202:203], v[186:187] op_sel:[0,0,1] op_sel_hi:[1,1,0]
	v_pk_fma_f32 v[186:187], v[206:207], v[202:203], v[186:187] op_sel:[0,0,1] op_sel_hi:[1,1,0] neg_lo:[0,0,1] neg_hi:[0,0,1]
	v_accvgpr_read_b32 v207, a65
	v_mov_b32_e32 v191, v187
	v_pk_add_f32 v[186:187], v[198:199], v[190:191] neg_lo:[0,1] neg_hi:[0,1]
	v_accvgpr_read_b32 v206, a64
	v_pk_fma_f32 v[190:191], v[198:199], 2.0, v[186:187] op_sel_hi:[1,0,1] neg_lo:[0,0,1] neg_hi:[0,0,1]
	v_accvgpr_read_b32 v199, a63
	v_accvgpr_read_b32 v198, a62
	v_pk_mul_f32 v[198:199], v[198:199], v[200:201]
	s_nop 0
	v_pk_fma_f32 v[202:203], v[206:207], v[200:201], v[198:199] op_sel:[0,0,1] op_sel_hi:[1,1,0]
	v_pk_fma_f32 v[198:199], v[206:207], v[200:201], v[198:199] op_sel:[0,0,1] op_sel_hi:[1,1,0] neg_lo:[0,0,1] neg_hi:[0,0,1]
	s_nop 0
	v_mov_b32_e32 v203, v199
	v_pk_add_f32 v[206:207], v[196:197], v[202:203] neg_lo:[0,1] neg_hi:[0,1]
	s_nop 0
	v_pk_fma_f32 v[208:209], v[196:197], 2.0, v[206:207] op_sel_hi:[1,0,1] neg_lo:[0,0,1] neg_hi:[0,0,1]
	ds_read2_b64 v[196:199], v184 offset1:63
	ds_read2_b64 v[200:203], v159 offset0:116 offset1:179
	s_waitcnt lgkmcnt(0)
	; wave barrier
	s_waitcnt lgkmcnt(0)
	v_pk_mul_f32 v[210:211], v[240:241], v[202:203]
	s_nop 0
	v_pk_fma_f32 v[212:213], v[244:245], v[202:203], v[210:211] op_sel:[0,0,1] op_sel_hi:[1,1,0]
	v_pk_fma_f32 v[202:203], v[244:245], v[202:203], v[210:211] op_sel:[0,0,1] op_sel_hi:[1,1,0] neg_lo:[0,0,1] neg_hi:[0,0,1]
	v_pk_mul_f32 v[210:211], v[238:239], v[200:201]
	v_mov_b32_e32 v213, v203
	v_pk_add_f32 v[202:203], v[198:199], v[212:213] neg_lo:[0,1] neg_hi:[0,1]
	v_pk_fma_f32 v[212:213], v[164:165], v[200:201], v[210:211] op_sel:[0,0,1] op_sel_hi:[1,1,0]
	v_pk_fma_f32 v[164:165], v[164:165], v[200:201], v[210:211] op_sel:[0,0,1] op_sel_hi:[1,1,0] neg_lo:[0,0,1] neg_hi:[0,0,1]
	v_pk_fma_f32 v[198:199], v[198:199], 2.0, v[202:203] op_sel_hi:[1,0,1] neg_lo:[0,0,1] neg_hi:[0,0,1]
	v_mov_b32_e32 v213, v165
	v_pk_add_f32 v[164:165], v[196:197], v[212:213] neg_lo:[0,1] neg_hi:[0,1]
	s_nop 0
	v_pk_fma_f32 v[196:197], v[196:197], 2.0, v[164:165] op_sel_hi:[1,0,1] neg_lo:[0,0,1] neg_hi:[0,0,1]
	ds_write2_b64 v185, v[196:197], v[164:165] offset1:4
	v_accvgpr_read_b32 v164, a59
	ds_write2_b64 v164, v[198:199], v[202:203] offset1:4
	v_accvgpr_read_b32 v164, a58
	;; [unrolled: 2-line block ×11, first 2 shown]
	ds_write2_b64 v104, v[148:149], v[146:147] offset1:4
	s_waitcnt lgkmcnt(0)
	; wave barrier
	s_waitcnt lgkmcnt(0)
	ds_read2_b64 v[146:149], v182 offset0:122 offset1:185
	ds_read2_b64 v[152:155], v160 offset0:114 offset1:177
	;; [unrolled: 1-line block ×3, first 2 shown]
	v_accvgpr_read_b32 v106, a134
	v_accvgpr_read_b32 v107, a135
	;; [unrolled: 1-line block ×3, first 2 shown]
	s_waitcnt lgkmcnt(1)
	v_pk_mul_f32 v[16:17], v[16:17], v[154:155]
	v_pk_mul_f32 v[12:13], v[12:13], v[152:153]
	v_pk_fma_f32 v[104:105], v[106:107], v[154:155], v[16:17] op_sel:[0,0,1] op_sel_hi:[1,1,0]
	v_pk_fma_f32 v[16:17], v[106:107], v[154:155], v[16:17] op_sel:[0,0,1] op_sel_hi:[1,1,0] neg_lo:[0,0,1] neg_hi:[0,0,1]
	v_accvgpr_read_b32 v170, a110
	v_mov_b32_e32 v105, v17
	v_accvgpr_read_b32 v16, a132
	v_accvgpr_read_b32 v17, a133
	s_waitcnt lgkmcnt(0)
	v_pk_mul_f32 v[16:17], v[16:17], v[166:167]
	v_accvgpr_read_b32 v179, a93
	v_pk_fma_f32 v[106:107], v[18:19], v[166:167], v[16:17] op_sel:[0,0,1] op_sel_hi:[1,1,0]
	v_pk_fma_f32 v[16:17], v[18:19], v[166:167], v[16:17] op_sel:[0,0,1] op_sel_hi:[1,1,0] neg_lo:[0,0,1] neg_hi:[0,0,1]
	v_accvgpr_read_b32 v178, a92
	v_mov_b32_e32 v107, v17
	v_pk_add_f32 v[16:17], v[148:149], v[104:105]
	v_accvgpr_read_b32 v197, a97
	v_pk_add_f32 v[112:113], v[16:17], v[106:107]
	v_accvgpr_read_b32 v16, a130
	v_accvgpr_read_b32 v17, a131
	v_pk_fma_f32 v[114:115], v[16:17], v[152:153], v[12:13] op_sel:[0,0,1] op_sel_hi:[1,1,0]
	v_pk_fma_f32 v[12:13], v[16:17], v[152:153], v[12:13] op_sel:[0,0,1] op_sel_hi:[1,1,0] neg_lo:[0,0,1] neg_hi:[0,0,1]
	v_accvgpr_read_b32 v196, a96
	v_mov_b32_e32 v115, v13
	v_accvgpr_read_b32 v12, a128
	v_accvgpr_read_b32 v13, a129
	v_pk_mul_f32 v[12:13], v[12:13], v[164:165]
	s_nop 0
	v_pk_fma_f32 v[166:167], v[14:15], v[164:165], v[12:13] op_sel:[0,0,1] op_sel_hi:[1,1,0]
	v_pk_fma_f32 v[12:13], v[14:15], v[164:165], v[12:13] op_sel:[0,0,1] op_sel_hi:[1,1,0] neg_lo:[0,0,1] neg_hi:[0,0,1]
	s_nop 0
	v_mov_b32_e32 v167, v13
	v_pk_add_f32 v[12:13], v[146:147], v[114:115]
	s_nop 0
	v_pk_add_f32 v[164:165], v[12:13], v[166:167]
	ds_read2_b64 v[12:15], v189 offset0:124 offset1:187
	ds_read2_b64 v[16:19], v159 offset0:116 offset1:179
	;; [unrolled: 1-line block ×3, first 2 shown]
	s_waitcnt lgkmcnt(1)
	v_pk_mul_f32 v[8:9], v[8:9], v[18:19]
	s_nop 0
	v_pk_fma_f32 v[168:169], v[170:171], v[18:19], v[8:9] op_sel:[0,0,1] op_sel_hi:[1,1,0]
	v_pk_fma_f32 v[8:9], v[170:171], v[18:19], v[8:9] op_sel:[0,0,1] op_sel_hi:[1,1,0] neg_lo:[0,0,1] neg_hi:[0,0,1]
	v_pk_mul_f32 v[4:5], v[4:5], v[16:17]
	v_mov_b32_e32 v169, v9
	v_accvgpr_read_b32 v8, a102
	v_accvgpr_read_b32 v9, a103
	s_waitcnt lgkmcnt(0)
	v_pk_mul_f32 v[8:9], v[8:9], v[154:155]
	s_nop 0
	v_pk_fma_f32 v[170:171], v[10:11], v[154:155], v[8:9] op_sel:[0,0,1] op_sel_hi:[1,1,0]
	v_pk_fma_f32 v[8:9], v[10:11], v[154:155], v[8:9] op_sel:[0,0,1] op_sel_hi:[1,1,0] neg_lo:[0,0,1] neg_hi:[0,0,1]
	s_nop 0
	v_mov_b32_e32 v171, v9
	v_pk_add_f32 v[8:9], v[14:15], v[168:169]
	s_nop 0
	v_pk_add_f32 v[154:155], v[8:9], v[170:171]
	v_accvgpr_read_b32 v8, a94
	v_accvgpr_read_b32 v9, a95
	v_pk_fma_f32 v[172:173], v[8:9], v[16:17], v[4:5] op_sel:[0,0,1] op_sel_hi:[1,1,0]
	v_pk_fma_f32 v[4:5], v[8:9], v[16:17], v[4:5] op_sel:[0,0,1] op_sel_hi:[1,1,0] neg_lo:[0,0,1] neg_hi:[0,0,1]
	s_nop 0
	v_mov_b32_e32 v173, v5
	v_accvgpr_read_b32 v4, a72
	v_accvgpr_read_b32 v5, a73
	v_pk_mul_f32 v[4:5], v[4:5], v[152:153]
	s_nop 0
	v_pk_fma_f32 v[174:175], v[6:7], v[152:153], v[4:5] op_sel:[0,0,1] op_sel_hi:[1,1,0]
	v_pk_fma_f32 v[4:5], v[6:7], v[152:153], v[4:5] op_sel:[0,0,1] op_sel_hi:[1,1,0] neg_lo:[0,0,1] neg_hi:[0,0,1]
	s_nop 0
	v_mov_b32_e32 v175, v5
	v_pk_add_f32 v[4:5], v[12:13], v[172:173]
	s_nop 0
	v_pk_add_f32 v[152:153], v[4:5], v[174:175]
	ds_read2_b64 v[4:7], v184 offset0:126 offset1:189
	ds_read2_b64 v[8:11], v194 offset0:118 offset1:181
	ds_read2_b64 v[16:19], v188 offset0:110 offset1:173
	s_waitcnt lgkmcnt(1)
	v_pk_mul_f32 v[0:1], v[0:1], v[10:11]
	s_nop 0
	v_pk_fma_f32 v[176:177], v[178:179], v[10:11], v[0:1] op_sel:[0,0,1] op_sel_hi:[1,1,0]
	v_pk_fma_f32 v[0:1], v[178:179], v[10:11], v[0:1] op_sel:[0,0,1] op_sel_hi:[1,1,0] neg_lo:[0,0,1] neg_hi:[0,0,1]
	s_nop 0
	v_mov_b32_e32 v177, v1
	v_accvgpr_read_b32 v0, a116
	v_accvgpr_read_b32 v1, a117
	s_waitcnt lgkmcnt(0)
	v_pk_mul_f32 v[0:1], v[0:1], v[18:19]
	s_nop 0
	v_pk_fma_f32 v[178:179], v[2:3], v[18:19], v[0:1] op_sel:[0,0,1] op_sel_hi:[1,1,0]
	v_pk_fma_f32 v[0:1], v[2:3], v[18:19], v[0:1] op_sel:[0,0,1] op_sel_hi:[1,1,0] neg_lo:[0,0,1] neg_hi:[0,0,1]
	v_accvgpr_read_b32 v2, a70
	v_mov_b32_e32 v179, v1
	v_pk_add_f32 v[0:1], v[6:7], v[176:177]
	v_accvgpr_read_b32 v3, a71
	v_pk_add_f32 v[180:181], v[0:1], v[178:179]
	v_pk_mul_f32 v[0:1], v[20:21], v[8:9]
	s_nop 0
	v_pk_fma_f32 v[20:21], v[2:3], v[8:9], v[0:1] op_sel:[0,0,1] op_sel_hi:[1,1,0]
	v_pk_fma_f32 v[0:1], v[2:3], v[8:9], v[0:1] op_sel:[0,0,1] op_sel_hi:[1,1,0] neg_lo:[0,0,1] neg_hi:[0,0,1]
	s_nop 0
	v_mov_b32_e32 v21, v1
	v_accvgpr_read_b32 v0, a104
	v_accvgpr_read_b32 v1, a105
	v_pk_mul_f32 v[0:1], v[0:1], v[16:17]
	s_nop 0
	v_pk_fma_f32 v[186:187], v[22:23], v[16:17], v[0:1] op_sel:[0,0,1] op_sel_hi:[1,1,0]
	v_pk_fma_f32 v[0:1], v[22:23], v[16:17], v[0:1] op_sel:[0,0,1] op_sel_hi:[1,1,0] neg_lo:[0,0,1] neg_hi:[0,0,1]
	s_nop 0
	v_mov_b32_e32 v187, v1
	v_pk_add_f32 v[0:1], v[4:5], v[20:21]
	s_nop 0
	v_pk_add_f32 v[22:23], v[0:1], v[186:187]
	ds_read2_b64 v[0:3], v184 offset1:63
	ds_read2_b64 v[8:11], v193 offset0:120 offset1:183
	ds_read2_b64 v[16:19], v183 offset0:112 offset1:175
	s_waitcnt lgkmcnt(0)
	; wave barrier
	s_waitcnt lgkmcnt(0)
	v_pk_mul_f32 v[28:29], v[28:29], v[10:11]
	s_nop 0
	v_pk_fma_f32 v[190:191], v[196:197], v[10:11], v[28:29] op_sel:[0,0,1] op_sel_hi:[1,1,0]
	v_pk_fma_f32 v[10:11], v[196:197], v[10:11], v[28:29] op_sel:[0,0,1] op_sel_hi:[1,1,0] neg_lo:[0,0,1] neg_hi:[0,0,1]
	s_nop 0
	v_mov_b32_e32 v191, v11
	v_accvgpr_read_b32 v10, a108
	v_accvgpr_read_b32 v11, a109
	v_pk_mul_f32 v[10:11], v[10:11], v[18:19]
	s_nop 0
	v_pk_fma_f32 v[28:29], v[30:31], v[18:19], v[10:11] op_sel:[0,0,1] op_sel_hi:[1,1,0]
	v_pk_fma_f32 v[10:11], v[30:31], v[18:19], v[10:11] op_sel:[0,0,1] op_sel_hi:[1,1,0] neg_lo:[0,0,1] neg_hi:[0,0,1]
	v_accvgpr_read_b32 v30, a90
	v_pk_mul_f32 v[18:19], v[24:25], v[8:9]
	v_accvgpr_read_b32 v31, a91
	v_pk_fma_f32 v[24:25], v[30:31], v[8:9], v[18:19] op_sel:[0,0,1] op_sel_hi:[1,1,0]
	v_pk_fma_f32 v[8:9], v[30:31], v[8:9], v[18:19] op_sel:[0,0,1] op_sel_hi:[1,1,0] neg_lo:[0,0,1] neg_hi:[0,0,1]
	v_mov_b32_e32 v29, v11
	v_mov_b32_e32 v25, v9
	v_accvgpr_read_b32 v8, a98
	v_accvgpr_read_b32 v9, a99
	v_pk_mul_f32 v[8:9], v[8:9], v[16:17]
	v_pk_add_f32 v[10:11], v[2:3], v[190:191]
	v_pk_fma_f32 v[18:19], v[26:27], v[16:17], v[8:9] op_sel:[0,0,1] op_sel_hi:[1,1,0]
	v_pk_fma_f32 v[8:9], v[26:27], v[16:17], v[8:9] op_sel:[0,0,1] op_sel_hi:[1,1,0] neg_lo:[0,0,1] neg_hi:[0,0,1]
	v_pk_add_f32 v[10:11], v[10:11], v[28:29]
	v_mov_b32_e32 v19, v9
	v_pk_add_f32 v[16:17], v[24:25], v[18:19]
	v_pk_add_f32 v[8:9], v[0:1], v[24:25]
	v_pk_fma_f32 v[0:1], v[16:17], 0.5, v[0:1] op_sel_hi:[1,0,1] neg_lo:[1,0,0] neg_hi:[1,0,0]
	v_pk_add_f32 v[16:17], v[24:25], v[18:19] neg_lo:[0,1] neg_hi:[0,1]
	v_pk_add_f32 v[8:9], v[8:9], v[18:19]
	v_pk_mul_f32 v[16:17], v[16:17], s[2:3] op_sel_hi:[1,0]
	s_nop 0
	v_pk_add_f32 v[18:19], v[0:1], v[16:17] op_sel:[0,1] op_sel_hi:[1,0] neg_lo:[0,1] neg_hi:[0,1]
	v_pk_add_f32 v[0:1], v[0:1], v[16:17] op_sel:[0,1] op_sel_hi:[1,0]
	v_mov_b32_e32 v16, v18
	v_mov_b32_e32 v17, v1
	v_accvgpr_read_b32 v18, a87
	v_mov_b32_e32 v1, v19
	ds_write_b64 v18, v[0:1] offset:128
	v_pk_add_f32 v[0:1], v[190:191], v[28:29]
	ds_write2_b64 v18, v[8:9], v[16:17] offset1:8
	v_pk_fma_f32 v[0:1], v[0:1], 0.5, v[2:3] op_sel_hi:[1,0,1] neg_lo:[1,0,0] neg_hi:[1,0,0]
	v_pk_add_f32 v[2:3], v[190:191], v[28:29] neg_lo:[0,1] neg_hi:[0,1]
	v_accvgpr_read_b32 v18, a168
	v_pk_mul_f32 v[2:3], v[2:3], s[2:3] op_sel_hi:[1,0]
	v_accvgpr_read_b32 v19, a169
	v_pk_add_f32 v[8:9], v[0:1], v[2:3] op_sel:[0,1] op_sel_hi:[1,0] neg_lo:[0,1] neg_hi:[0,1]
	v_pk_add_f32 v[0:1], v[0:1], v[2:3] op_sel:[0,1] op_sel_hi:[1,0]
	v_mov_b32_e32 v2, v8
	v_mov_b32_e32 v3, v1
	v_accvgpr_read_b32 v8, a126
	v_mov_b32_e32 v1, v9
	ds_write2_b64 v8, v[10:11], v[2:3] offset1:8
	ds_write_b64 v8, v[0:1] offset:128
	v_pk_add_f32 v[0:1], v[20:21], v[186:187]
	v_pk_add_f32 v[2:3], v[20:21], v[186:187] neg_lo:[0,1] neg_hi:[0,1]
	v_pk_fma_f32 v[0:1], v[0:1], 0.5, v[4:5] op_sel_hi:[1,0,1] neg_lo:[1,0,0] neg_hi:[1,0,0]
	v_pk_mul_f32 v[2:3], v[2:3], s[2:3] op_sel_hi:[1,0]
	s_nop 0
	v_pk_add_f32 v[4:5], v[0:1], v[2:3] op_sel:[0,1] op_sel_hi:[1,0] neg_lo:[0,1] neg_hi:[0,1]
	v_pk_add_f32 v[0:1], v[0:1], v[2:3] op_sel:[0,1] op_sel_hi:[1,0]
	v_mov_b32_e32 v2, v4
	v_mov_b32_e32 v3, v1
	v_accvgpr_read_b32 v4, a127
	v_mov_b32_e32 v1, v5
	ds_write2_b64 v4, v[22:23], v[2:3] offset1:8
	ds_write_b64 v4, v[0:1] offset:128
	v_pk_add_f32 v[0:1], v[176:177], v[178:179]
	v_pk_add_f32 v[2:3], v[176:177], v[178:179] neg_lo:[0,1] neg_hi:[0,1]
	v_pk_fma_f32 v[0:1], v[0:1], 0.5, v[6:7] op_sel_hi:[1,0,1] neg_lo:[1,0,0] neg_hi:[1,0,0]
	v_pk_mul_f32 v[2:3], v[2:3], s[2:3] op_sel_hi:[1,0]
	v_accvgpr_read_b32 v22, a174
	v_pk_add_f32 v[4:5], v[0:1], v[2:3] op_sel:[0,1] op_sel_hi:[1,0] neg_lo:[0,1] neg_hi:[0,1]
	v_pk_add_f32 v[0:1], v[0:1], v[2:3] op_sel:[0,1] op_sel_hi:[1,0]
	v_mov_b32_e32 v2, v4
	v_mov_b32_e32 v3, v1
	v_accvgpr_read_b32 v4, a138
	v_mov_b32_e32 v1, v5
	ds_write2_b64 v4, v[180:181], v[2:3] offset1:8
	ds_write_b64 v4, v[0:1] offset:128
	v_pk_add_f32 v[0:1], v[172:173], v[174:175]
	v_pk_add_f32 v[2:3], v[172:173], v[174:175] neg_lo:[0,1] neg_hi:[0,1]
	v_pk_fma_f32 v[0:1], v[0:1], 0.5, v[12:13] op_sel_hi:[1,0,1] neg_lo:[1,0,0] neg_hi:[1,0,0]
	v_pk_mul_f32 v[2:3], v[2:3], s[2:3] op_sel_hi:[1,0]
	v_accvgpr_read_b32 v23, a175
	v_pk_add_f32 v[4:5], v[0:1], v[2:3] op_sel:[0,1] op_sel_hi:[1,0] neg_lo:[0,1] neg_hi:[0,1]
	v_pk_add_f32 v[0:1], v[0:1], v[2:3] op_sel:[0,1] op_sel_hi:[1,0]
	v_mov_b32_e32 v2, v4
	v_mov_b32_e32 v3, v1
	v_accvgpr_read_b32 v4, a139
	v_mov_b32_e32 v1, v5
	ds_write2_b64 v4, v[152:153], v[2:3] offset1:8
	ds_write_b64 v4, v[0:1] offset:128
	v_pk_add_f32 v[0:1], v[168:169], v[170:171]
	v_pk_add_f32 v[2:3], v[168:169], v[170:171] neg_lo:[0,1] neg_hi:[0,1]
	v_pk_fma_f32 v[0:1], v[0:1], 0.5, v[14:15] op_sel_hi:[1,0,1] neg_lo:[1,0,0] neg_hi:[1,0,0]
	v_pk_mul_f32 v[2:3], v[2:3], s[2:3] op_sel_hi:[1,0]
	v_accvgpr_read_b32 v14, a118
	v_pk_add_f32 v[4:5], v[0:1], v[2:3] op_sel:[0,1] op_sel_hi:[1,0] neg_lo:[0,1] neg_hi:[0,1]
	v_pk_add_f32 v[0:1], v[0:1], v[2:3] op_sel:[0,1] op_sel_hi:[1,0]
	v_mov_b32_e32 v2, v4
	v_mov_b32_e32 v3, v1
	v_accvgpr_read_b32 v4, a140
	v_mov_b32_e32 v1, v5
	ds_write2_b64 v4, v[154:155], v[2:3] offset1:8
	ds_write_b64 v4, v[0:1] offset:128
	v_pk_add_f32 v[0:1], v[114:115], v[166:167]
	v_pk_add_f32 v[2:3], v[114:115], v[166:167] neg_lo:[0,1] neg_hi:[0,1]
	v_pk_fma_f32 v[0:1], v[0:1], 0.5, v[146:147] op_sel_hi:[1,0,1] neg_lo:[1,0,0] neg_hi:[1,0,0]
	v_pk_mul_f32 v[2:3], v[2:3], s[2:3] op_sel_hi:[1,0]
	v_accvgpr_read_b32 v15, a119
	v_pk_add_f32 v[4:5], v[0:1], v[2:3] op_sel:[0,1] op_sel_hi:[1,0] neg_lo:[0,1] neg_hi:[0,1]
	v_pk_add_f32 v[0:1], v[0:1], v[2:3] op_sel:[0,1] op_sel_hi:[1,0]
	v_mov_b32_e32 v2, v4
	v_mov_b32_e32 v3, v1
	v_accvgpr_read_b32 v4, a146
	v_mov_b32_e32 v1, v5
	ds_write2_b64 v4, v[164:165], v[2:3] offset1:8
	ds_write_b64 v4, v[0:1] offset:128
	v_pk_add_f32 v[0:1], v[104:105], v[106:107]
	v_pk_add_f32 v[2:3], v[104:105], v[106:107] neg_lo:[0,1] neg_hi:[0,1]
	v_pk_fma_f32 v[0:1], v[0:1], 0.5, v[148:149] op_sel_hi:[1,0,1] neg_lo:[1,0,0] neg_hi:[1,0,0]
	v_pk_mul_f32 v[2:3], v[2:3], s[2:3] op_sel_hi:[1,0]
	v_accvgpr_read_b32 v154, a182
	v_pk_add_f32 v[4:5], v[0:1], v[2:3] op_sel:[0,1] op_sel_hi:[1,0] neg_lo:[0,1] neg_hi:[0,1]
	v_pk_add_f32 v[0:1], v[0:1], v[2:3] op_sel:[0,1] op_sel_hi:[1,0]
	v_mov_b32_e32 v2, v4
	v_mov_b32_e32 v3, v1
	v_accvgpr_read_b32 v4, a153
	v_mov_b32_e32 v1, v5
	ds_write2_b64 v4, v[112:113], v[2:3] offset1:8
	ds_write_b64 v4, v[0:1] offset:128
	s_waitcnt lgkmcnt(0)
	; wave barrier
	s_waitcnt lgkmcnt(0)
	ds_read2_b64 v[0:3], v182 offset0:122 offset1:185
	ds_read2_b64 v[4:7], v160 offset0:114 offset1:177
	;; [unrolled: 1-line block ×3, first 2 shown]
	v_accvgpr_read_b32 v155, a183
	s_waitcnt lgkmcnt(1)
	v_pk_mul_f32 v[12:13], v[32:33], v[6:7]
	s_nop 0
	v_pk_fma_f32 v[24:25], v[14:15], v[6:7], v[12:13] op_sel:[0,0,1] op_sel_hi:[1,1,0]
	v_pk_fma_f32 v[6:7], v[14:15], v[6:7], v[12:13] op_sel:[0,0,1] op_sel_hi:[1,1,0] neg_lo:[0,0,1] neg_hi:[0,0,1]
	s_nop 0
	v_mov_b32_e32 v25, v7
	v_accvgpr_read_b32 v6, a176
	v_accvgpr_read_b32 v7, a177
	s_waitcnt lgkmcnt(0)
	v_pk_mul_f32 v[6:7], v[6:7], v[10:11]
	s_nop 0
	v_pk_fma_f32 v[26:27], v[34:35], v[10:11], v[6:7] op_sel:[0,0,1] op_sel_hi:[1,1,0]
	v_pk_fma_f32 v[6:7], v[34:35], v[10:11], v[6:7] op_sel:[0,0,1] op_sel_hi:[1,1,0] neg_lo:[0,0,1] neg_hi:[0,0,1]
	s_nop 0
	v_mov_b32_e32 v27, v7
	v_pk_add_f32 v[6:7], v[24:25], v[26:27]
	v_pk_add_f32 v[10:11], v[24:25], v[26:27] neg_lo:[0,1] neg_hi:[0,1]
	v_pk_fma_f32 v[6:7], v[6:7], 0.5, v[2:3] op_sel_hi:[1,0,1] neg_lo:[1,0,0] neg_hi:[1,0,0]
	v_pk_mul_f32 v[10:11], v[10:11], s[2:3] op_sel_hi:[1,0]
	s_nop 0
	v_pk_add_f32 v[28:29], v[6:7], v[10:11] op_sel:[0,1] op_sel_hi:[1,0]
	v_pk_add_f32 v[30:31], v[6:7], v[10:11] op_sel:[0,1] op_sel_hi:[1,0] neg_lo:[0,1] neg_hi:[0,1]
	v_accvgpr_read_b32 v10, a112
	v_pk_mul_f32 v[6:7], v[36:37], v[4:5]
	v_accvgpr_read_b32 v11, a113
	v_pk_fma_f32 v[32:33], v[10:11], v[4:5], v[6:7] op_sel:[0,0,1] op_sel_hi:[1,1,0]
	v_pk_fma_f32 v[4:5], v[10:11], v[4:5], v[6:7] op_sel:[0,0,1] op_sel_hi:[1,1,0] neg_lo:[0,0,1] neg_hi:[0,0,1]
	s_nop 0
	v_mov_b32_e32 v33, v5
	v_accvgpr_read_b32 v4, a166
	v_accvgpr_read_b32 v5, a167
	v_pk_mul_f32 v[4:5], v[4:5], v[8:9]
	s_nop 0
	v_pk_fma_f32 v[34:35], v[38:39], v[8:9], v[4:5] op_sel:[0,0,1] op_sel_hi:[1,1,0]
	v_pk_fma_f32 v[4:5], v[38:39], v[8:9], v[4:5] op_sel:[0,0,1] op_sel_hi:[1,1,0] neg_lo:[0,0,1] neg_hi:[0,0,1]
	s_nop 0
	v_mov_b32_e32 v35, v5
	v_pk_add_f32 v[4:5], v[32:33], v[34:35]
	v_pk_add_f32 v[6:7], v[32:33], v[34:35] neg_lo:[0,1] neg_hi:[0,1]
	v_pk_fma_f32 v[4:5], v[4:5], 0.5, v[0:1] op_sel_hi:[1,0,1] neg_lo:[1,0,0] neg_hi:[1,0,0]
	v_pk_mul_f32 v[6:7], v[6:7], s[2:3] op_sel_hi:[1,0]
	v_pk_add_f32 v[0:1], v[0:1], v[32:33]
	v_pk_add_f32 v[36:37], v[4:5], v[6:7] op_sel:[0,1] op_sel_hi:[1,0]
	v_pk_add_f32 v[38:39], v[4:5], v[6:7] op_sel:[0,1] op_sel_hi:[1,0] neg_lo:[0,1] neg_hi:[0,1]
	ds_read2_b64 v[4:7], v189 offset0:124 offset1:187
	ds_read2_b64 v[8:11], v159 offset0:116 offset1:179
	;; [unrolled: 1-line block ×3, first 2 shown]
	v_pk_add_f32 v[0:1], v[0:1], v[34:35]
	v_accvgpr_read_b32 v32, a190
	v_accvgpr_read_b32 v33, a191
	s_waitcnt lgkmcnt(1)
	v_pk_mul_f32 v[16:17], v[40:41], v[10:11]
	s_nop 0
	v_pk_fma_f32 v[40:41], v[18:19], v[10:11], v[16:17] op_sel:[0,0,1] op_sel_hi:[1,1,0]
	v_pk_fma_f32 v[10:11], v[18:19], v[10:11], v[16:17] op_sel:[0,0,1] op_sel_hi:[1,1,0] neg_lo:[0,0,1] neg_hi:[0,0,1]
	s_nop 0
	v_mov_b32_e32 v41, v11
	v_accvgpr_read_b32 v10, a184
	v_accvgpr_read_b32 v11, a185
	s_waitcnt lgkmcnt(0)
	v_pk_mul_f32 v[10:11], v[10:11], v[14:15]
	s_nop 0
	v_pk_fma_f32 v[104:105], v[42:43], v[14:15], v[10:11] op_sel:[0,0,1] op_sel_hi:[1,1,0]
	v_pk_fma_f32 v[10:11], v[42:43], v[14:15], v[10:11] op_sel:[0,0,1] op_sel_hi:[1,1,0] neg_lo:[0,0,1] neg_hi:[0,0,1]
	s_nop 0
	v_mov_b32_e32 v105, v11
	v_pk_add_f32 v[10:11], v[40:41], v[104:105]
	v_pk_add_f32 v[14:15], v[40:41], v[104:105] neg_lo:[0,1] neg_hi:[0,1]
	v_pk_fma_f32 v[10:11], v[10:11], 0.5, v[6:7] op_sel_hi:[1,0,1] neg_lo:[1,0,0] neg_hi:[1,0,0]
	v_pk_mul_f32 v[14:15], v[14:15], s[2:3] op_sel_hi:[1,0]
	s_nop 0
	v_pk_add_f32 v[42:43], v[10:11], v[14:15] op_sel:[0,1] op_sel_hi:[1,0]
	v_pk_add_f32 v[106:107], v[10:11], v[14:15] op_sel:[0,1] op_sel_hi:[1,0] neg_lo:[0,1] neg_hi:[0,1]
	v_accvgpr_read_b32 v14, a122
	v_pk_mul_f32 v[10:11], v[44:45], v[8:9]
	v_accvgpr_read_b32 v15, a123
	v_pk_fma_f32 v[44:45], v[14:15], v[8:9], v[10:11] op_sel:[0,0,1] op_sel_hi:[1,1,0]
	v_pk_fma_f32 v[8:9], v[14:15], v[8:9], v[10:11] op_sel:[0,0,1] op_sel_hi:[1,1,0] neg_lo:[0,0,1] neg_hi:[0,0,1]
	s_nop 0
	v_mov_b32_e32 v45, v9
	v_accvgpr_read_b32 v8, a170
	v_accvgpr_read_b32 v9, a171
	v_pk_mul_f32 v[8:9], v[8:9], v[12:13]
	s_nop 0
	v_pk_fma_f32 v[112:113], v[46:47], v[12:13], v[8:9] op_sel:[0,0,1] op_sel_hi:[1,1,0]
	v_pk_fma_f32 v[8:9], v[46:47], v[12:13], v[8:9] op_sel:[0,0,1] op_sel_hi:[1,1,0] neg_lo:[0,0,1] neg_hi:[0,0,1]
	s_nop 0
	v_mov_b32_e32 v113, v9
	v_pk_add_f32 v[8:9], v[44:45], v[112:113]
	v_pk_add_f32 v[10:11], v[44:45], v[112:113] neg_lo:[0,1] neg_hi:[0,1]
	v_pk_fma_f32 v[8:9], v[8:9], 0.5, v[4:5] op_sel_hi:[1,0,1] neg_lo:[1,0,0] neg_hi:[1,0,0]
	v_pk_mul_f32 v[10:11], v[10:11], s[2:3] op_sel_hi:[1,0]
	v_pk_add_f32 v[4:5], v[4:5], v[44:45]
	v_pk_add_f32 v[46:47], v[8:9], v[10:11] op_sel:[0,1] op_sel_hi:[1,0]
	v_pk_add_f32 v[114:115], v[8:9], v[10:11] op_sel:[0,1] op_sel_hi:[1,0] neg_lo:[0,1] neg_hi:[0,1]
	ds_read2_b64 v[8:11], v184 offset0:126 offset1:189
	ds_read2_b64 v[12:15], v194 offset0:118 offset1:181
	;; [unrolled: 1-line block ×3, first 2 shown]
	v_pk_add_f32 v[4:5], v[4:5], v[112:113]
	s_waitcnt lgkmcnt(1)
	v_pk_mul_f32 v[20:21], v[52:53], v[14:15]
	s_nop 0
	v_pk_fma_f32 v[52:53], v[22:23], v[14:15], v[20:21] op_sel:[0,0,1] op_sel_hi:[1,1,0]
	v_pk_fma_f32 v[14:15], v[22:23], v[14:15], v[20:21] op_sel:[0,0,1] op_sel_hi:[1,1,0] neg_lo:[0,0,1] neg_hi:[0,0,1]
	s_nop 0
	v_mov_b32_e32 v53, v15
	v_accvgpr_read_b32 v14, a192
	v_accvgpr_read_b32 v15, a193
	s_waitcnt lgkmcnt(0)
	v_pk_mul_f32 v[14:15], v[14:15], v[18:19]
	s_nop 0
	v_pk_fma_f32 v[146:147], v[54:55], v[18:19], v[14:15] op_sel:[0,0,1] op_sel_hi:[1,1,0]
	v_pk_fma_f32 v[14:15], v[54:55], v[18:19], v[14:15] op_sel:[0,0,1] op_sel_hi:[1,1,0] neg_lo:[0,0,1] neg_hi:[0,0,1]
	v_accvgpr_read_b32 v18, a172
	v_mov_b32_e32 v147, v15
	v_pk_add_f32 v[14:15], v[10:11], v[52:53]
	v_accvgpr_read_b32 v19, a173
	v_pk_add_f32 v[54:55], v[14:15], v[146:147]
	v_pk_mul_f32 v[14:15], v[48:49], v[12:13]
	s_nop 0
	v_pk_fma_f32 v[48:49], v[18:19], v[12:13], v[14:15] op_sel:[0,0,1] op_sel_hi:[1,1,0]
	v_pk_fma_f32 v[12:13], v[18:19], v[12:13], v[14:15] op_sel:[0,0,1] op_sel_hi:[1,1,0] neg_lo:[0,0,1] neg_hi:[0,0,1]
	s_nop 0
	v_mov_b32_e32 v49, v13
	v_accvgpr_read_b32 v12, a180
	v_accvgpr_read_b32 v13, a181
	v_pk_mul_f32 v[12:13], v[12:13], v[16:17]
	s_nop 0
	v_pk_fma_f32 v[148:149], v[50:51], v[16:17], v[12:13] op_sel:[0,0,1] op_sel_hi:[1,1,0]
	v_pk_fma_f32 v[12:13], v[50:51], v[16:17], v[12:13] op_sel:[0,0,1] op_sel_hi:[1,1,0] neg_lo:[0,0,1] neg_hi:[0,0,1]
	s_nop 0
	v_mov_b32_e32 v149, v13
	v_pk_add_f32 v[12:13], v[8:9], v[48:49]
	s_nop 0
	v_pk_add_f32 v[50:51], v[12:13], v[148:149]
	ds_read2_b64 v[12:15], v184 offset1:63
	ds_read2_b64 v[16:19], v193 offset0:120 offset1:183
	ds_read2_b64 v[20:23], v183 offset0:112 offset1:175
	s_waitcnt lgkmcnt(0)
	; wave barrier
	s_waitcnt lgkmcnt(0)
	v_pk_mul_f32 v[60:61], v[60:61], v[18:19]
	s_nop 0
	v_pk_fma_f32 v[152:153], v[154:155], v[18:19], v[60:61] op_sel:[0,0,1] op_sel_hi:[1,1,0]
	v_pk_fma_f32 v[18:19], v[154:155], v[18:19], v[60:61] op_sel:[0,0,1] op_sel_hi:[1,1,0] neg_lo:[0,0,1] neg_hi:[0,0,1]
	s_nop 0
	v_mov_b32_e32 v153, v19
	v_accvgpr_read_b32 v18, a188
	v_accvgpr_read_b32 v19, a189
	v_pk_mul_f32 v[18:19], v[18:19], v[22:23]
	s_nop 0
	v_pk_fma_f32 v[60:61], v[62:63], v[22:23], v[18:19] op_sel:[0,0,1] op_sel_hi:[1,1,0]
	v_pk_fma_f32 v[18:19], v[62:63], v[22:23], v[18:19] op_sel:[0,0,1] op_sel_hi:[1,1,0] neg_lo:[0,0,1] neg_hi:[0,0,1]
	v_accvgpr_read_b32 v62, a178
	v_pk_mul_f32 v[22:23], v[56:57], v[16:17]
	v_accvgpr_read_b32 v63, a179
	v_pk_fma_f32 v[56:57], v[62:63], v[16:17], v[22:23] op_sel:[0,0,1] op_sel_hi:[1,1,0]
	v_pk_fma_f32 v[16:17], v[62:63], v[16:17], v[22:23] op_sel:[0,0,1] op_sel_hi:[1,1,0] neg_lo:[0,0,1] neg_hi:[0,0,1]
	v_mov_b32_e32 v61, v19
	v_mov_b32_e32 v57, v17
	v_accvgpr_read_b32 v16, a186
	v_accvgpr_read_b32 v17, a187
	v_pk_mul_f32 v[16:17], v[16:17], v[20:21]
	v_pk_add_f32 v[18:19], v[14:15], v[152:153]
	v_pk_fma_f32 v[22:23], v[58:59], v[20:21], v[16:17] op_sel:[0,0,1] op_sel_hi:[1,1,0]
	v_pk_fma_f32 v[16:17], v[58:59], v[20:21], v[16:17] op_sel:[0,0,1] op_sel_hi:[1,1,0] neg_lo:[0,0,1] neg_hi:[0,0,1]
	v_pk_add_f32 v[18:19], v[18:19], v[60:61]
	v_mov_b32_e32 v23, v17
	v_pk_add_f32 v[20:21], v[56:57], v[22:23]
	v_pk_add_f32 v[16:17], v[12:13], v[56:57]
	v_pk_fma_f32 v[12:13], v[20:21], 0.5, v[12:13] op_sel_hi:[1,0,1] neg_lo:[1,0,0] neg_hi:[1,0,0]
	v_pk_add_f32 v[20:21], v[56:57], v[22:23] neg_lo:[0,1] neg_hi:[0,1]
	v_pk_add_f32 v[16:17], v[16:17], v[22:23]
	v_pk_mul_f32 v[20:21], v[20:21], s[2:3] op_sel_hi:[1,0]
	s_nop 0
	v_pk_add_f32 v[22:23], v[12:13], v[20:21] op_sel:[0,1] op_sel_hi:[1,0] neg_lo:[0,1] neg_hi:[0,1]
	v_pk_add_f32 v[12:13], v[12:13], v[20:21] op_sel:[0,1] op_sel_hi:[1,0]
	v_mov_b32_e32 v20, v22
	v_mov_b32_e32 v21, v13
	v_accvgpr_read_b32 v22, a196
	v_mov_b32_e32 v13, v23
	ds_write_b64 v22, v[12:13] offset:384
	v_pk_add_f32 v[12:13], v[152:153], v[60:61]
	ds_write2_b64 v22, v[16:17], v[20:21] offset1:24
	v_pk_fma_f32 v[12:13], v[12:13], 0.5, v[14:15] op_sel_hi:[1,0,1] neg_lo:[1,0,0] neg_hi:[1,0,0]
	v_pk_add_f32 v[14:15], v[152:153], v[60:61] neg_lo:[0,1] neg_hi:[0,1]
	s_nop 0
	v_pk_mul_f32 v[14:15], v[14:15], s[2:3] op_sel_hi:[1,0]
	s_nop 0
	v_pk_add_f32 v[16:17], v[12:13], v[14:15] op_sel:[0,1] op_sel_hi:[1,0] neg_lo:[0,1] neg_hi:[0,1]
	v_pk_add_f32 v[12:13], v[12:13], v[14:15] op_sel:[0,1] op_sel_hi:[1,0]
	v_mov_b32_e32 v14, v16
	v_mov_b32_e32 v15, v13
	v_accvgpr_read_b32 v16, a197
	v_mov_b32_e32 v13, v17
	ds_write_b64 v16, v[12:13] offset:384
	v_pk_add_f32 v[12:13], v[48:49], v[148:149]
	ds_write2_b64 v16, v[18:19], v[14:15] offset1:24
	v_pk_fma_f32 v[8:9], v[12:13], 0.5, v[8:9] op_sel_hi:[1,0,1] neg_lo:[1,0,0] neg_hi:[1,0,0]
	v_pk_add_f32 v[12:13], v[48:49], v[148:149] neg_lo:[0,1] neg_hi:[0,1]
	s_nop 0
	;; [unrolled: 14-line block ×3, first 2 shown]
	v_pk_mul_f32 v[10:11], v[10:11], s[2:3] op_sel_hi:[1,0]
	s_nop 0
	v_pk_add_f32 v[12:13], v[8:9], v[10:11] op_sel:[0,1] op_sel_hi:[1,0] neg_lo:[0,1] neg_hi:[0,1]
	v_pk_add_f32 v[8:9], v[8:9], v[10:11] op_sel:[0,1] op_sel_hi:[1,0]
	v_mov_b32_e32 v10, v12
	v_mov_b32_e32 v11, v9
	v_accvgpr_read_b32 v12, a199
	v_mov_b32_e32 v9, v13
	ds_write2_b64 v12, v[54:55], v[10:11] offset1:24
	ds_write_b64 v12, v[8:9] offset:384
	v_mov_b32_e32 v8, v114
	v_mov_b32_e32 v9, v47
	v_accvgpr_read_b32 v10, a200
	ds_write2_b64 v10, v[4:5], v[8:9] offset1:24
	v_pk_add_f32 v[4:5], v[6:7], v[40:41]
	v_mov_b32_e32 v47, v115
	v_pk_add_f32 v[4:5], v[4:5], v[104:105]
	v_mov_b32_e32 v6, v106
	v_mov_b32_e32 v7, v43
	v_accvgpr_read_b32 v8, a201
	ds_write_b64 v10, v[46:47] offset:384
	ds_write2_b64 v8, v[4:5], v[6:7] offset1:24
	v_mov_b32_e32 v43, v107
	v_mov_b32_e32 v4, v38
	;; [unrolled: 1-line block ×3, first 2 shown]
	v_accvgpr_read_b32 v6, a202
	ds_write_b64 v8, v[42:43] offset:384
	ds_write2_b64 v6, v[0:1], v[4:5] offset1:24
	v_pk_add_f32 v[0:1], v[2:3], v[24:25]
	v_mov_b32_e32 v37, v39
	v_pk_add_f32 v[0:1], v[0:1], v[26:27]
	v_mov_b32_e32 v2, v30
	v_mov_b32_e32 v3, v29
	v_accvgpr_read_b32 v4, a203
	v_mov_b32_e32 v29, v31
	ds_write_b64 v6, v[36:37] offset:384
	ds_write2_b64 v4, v[0:1], v[2:3] offset1:24
	ds_write_b64 v4, v[28:29] offset:384
	s_waitcnt lgkmcnt(0)
	; wave barrier
	s_waitcnt lgkmcnt(0)
	ds_read2_b64 v[4:7], v182 offset0:122 offset1:185
	ds_read2_b64 v[8:11], v160 offset0:114 offset1:177
	;; [unrolled: 1-line block ×3, first 2 shown]
	s_waitcnt lgkmcnt(1)
	v_pk_mul_f32 v[0:1], v[80:81], v[10:11]
	s_nop 0
	v_pk_fma_f32 v[2:3], v[162:163], v[10:11], v[0:1] op_sel:[0,0,1] op_sel_hi:[1,1,0]
	v_pk_fma_f32 v[0:1], v[162:163], v[10:11], v[0:1] op_sel:[0,0,1] op_sel_hi:[1,1,0] neg_lo:[0,0,1] neg_hi:[0,0,1]
	s_nop 0
	v_mov_b32_e32 v3, v1
	v_accvgpr_read_b32 v0, a218
	v_accvgpr_read_b32 v1, a219
	s_waitcnt lgkmcnt(0)
	v_pk_mul_f32 v[0:1], v[0:1], v[14:15]
	s_nop 0
	v_pk_fma_f32 v[10:11], v[82:83], v[14:15], v[0:1] op_sel:[0,0,1] op_sel_hi:[1,1,0]
	v_pk_fma_f32 v[0:1], v[82:83], v[14:15], v[0:1] op_sel:[0,0,1] op_sel_hi:[1,1,0] neg_lo:[0,0,1] neg_hi:[0,0,1]
	s_nop 0
	v_mov_b32_e32 v11, v1
	v_pk_add_f32 v[14:15], v[2:3], v[10:11]
	v_pk_add_f32 v[0:1], v[6:7], v[2:3]
	v_pk_fma_f32 v[6:7], v[14:15], 0.5, v[6:7] op_sel_hi:[1,0,1] neg_lo:[1,0,0] neg_hi:[1,0,0]
	ds_read2_b64 v[14:17], v184 offset1:63
	ds_read2_b64 v[18:21], v193 offset0:120 offset1:183
	ds_read2_b64 v[22:25], v183 offset0:112 offset1:175
	v_pk_add_f32 v[2:3], v[2:3], v[10:11] neg_lo:[0,1] neg_hi:[0,1]
	v_pk_add_f32 v[0:1], v[0:1], v[10:11]
	v_pk_mul_f32 v[2:3], v[2:3], s[2:3] op_sel_hi:[1,0]
	v_accvgpr_read_b32 v10, a236
	v_pk_add_f32 v[44:45], v[2:3], v[6:7] op_sel:[1,0] op_sel_hi:[0,1]
	v_pk_add_f32 v[2:3], v[6:7], v[2:3] op_sel:[0,1] op_sel_hi:[1,0] neg_lo:[0,1] neg_hi:[0,1]
	s_waitcnt lgkmcnt(1)
	v_pk_mul_f32 v[6:7], v[92:93], v[18:19]
	v_accvgpr_read_b32 v11, a237
	v_pk_fma_f32 v[34:35], v[10:11], v[18:19], v[6:7] op_sel:[0,0,1] op_sel_hi:[1,1,0]
	v_pk_fma_f32 v[6:7], v[10:11], v[18:19], v[6:7] op_sel:[0,0,1] op_sel_hi:[1,1,0] neg_lo:[0,0,1] neg_hi:[0,0,1]
	v_accvgpr_read_b32 v10, a194
	v_mov_b32_e32 v35, v7
	v_accvgpr_read_b32 v6, a238
	v_accvgpr_read_b32 v7, a239
	s_waitcnt lgkmcnt(0)
	v_pk_mul_f32 v[6:7], v[6:7], v[22:23]
	v_accvgpr_read_b32 v11, a195
	v_pk_fma_f32 v[18:19], v[94:95], v[22:23], v[6:7] op_sel:[0,0,1] op_sel_hi:[1,1,0]
	v_pk_fma_f32 v[6:7], v[94:95], v[22:23], v[6:7] op_sel:[0,0,1] op_sel_hi:[1,1,0] neg_lo:[0,0,1] neg_hi:[0,0,1]
	s_nop 0
	v_mov_b32_e32 v19, v7
	v_pk_add_f32 v[6:7], v[14:15], v[34:35]
	s_nop 0
	v_pk_add_f32 v[22:23], v[6:7], v[18:19]
	v_pk_mul_f32 v[6:7], v[72:73], v[8:9]
	s_nop 0
	v_pk_fma_f32 v[36:37], v[10:11], v[8:9], v[6:7] op_sel:[0,0,1] op_sel_hi:[1,1,0]
	v_pk_fma_f32 v[6:7], v[10:11], v[8:9], v[6:7] op_sel:[0,0,1] op_sel_hi:[1,1,0] neg_lo:[0,0,1] neg_hi:[0,0,1]
	s_nop 0
	v_mov_b32_e32 v37, v7
	v_accvgpr_read_b32 v6, a206
	v_accvgpr_read_b32 v7, a207
	v_pk_mul_f32 v[6:7], v[6:7], v[12:13]
	s_nop 0
	v_pk_fma_f32 v[38:39], v[74:75], v[12:13], v[6:7] op_sel:[0,0,1] op_sel_hi:[1,1,0]
	v_pk_fma_f32 v[6:7], v[74:75], v[12:13], v[6:7] op_sel:[0,0,1] op_sel_hi:[1,1,0] neg_lo:[0,0,1] neg_hi:[0,0,1]
	s_nop 0
	v_mov_b32_e32 v39, v7
	v_pk_add_f32 v[6:7], v[36:37], v[38:39]
	v_pk_add_f32 v[8:9], v[36:37], v[38:39] neg_lo:[0,1] neg_hi:[0,1]
	v_pk_fma_f32 v[6:7], v[6:7], 0.5, v[4:5] op_sel_hi:[1,0,1] neg_lo:[1,0,0] neg_hi:[1,0,0]
	v_pk_mul_f32 v[8:9], v[8:9], s[2:3] op_sel_hi:[1,0]
	v_pk_add_f32 v[4:5], v[4:5], v[36:37]
	v_pk_add_f32 v[40:41], v[6:7], v[8:9] op_sel:[0,1] op_sel_hi:[1,0]
	v_pk_add_f32 v[42:43], v[6:7], v[8:9] op_sel:[0,1] op_sel_hi:[1,0] neg_lo:[0,1] neg_hi:[0,1]
	ds_read2_b64 v[6:9], v189 offset0:124 offset1:187
	ds_read2_b64 v[10:13], v159 offset0:116 offset1:179
	;; [unrolled: 1-line block ×3, first 2 shown]
	v_pk_add_f32 v[4:5], v[4:5], v[38:39]
	s_waitcnt lgkmcnt(1)
	v_pk_mul_f32 v[30:31], v[64:65], v[12:13]
	s_nop 0
	v_pk_fma_f32 v[46:47], v[32:33], v[12:13], v[30:31] op_sel:[0,0,1] op_sel_hi:[1,1,0]
	v_pk_fma_f32 v[12:13], v[32:33], v[12:13], v[30:31] op_sel:[0,0,1] op_sel_hi:[1,1,0] neg_lo:[0,0,1] neg_hi:[0,0,1]
	s_nop 0
	v_mov_b32_e32 v47, v13
	v_accvgpr_read_b32 v12, a216
	v_accvgpr_read_b32 v13, a217
	s_waitcnt lgkmcnt(0)
	v_pk_mul_f32 v[12:13], v[12:13], v[28:29]
	s_nop 0
	v_pk_fma_f32 v[48:49], v[66:67], v[28:29], v[12:13] op_sel:[0,0,1] op_sel_hi:[1,1,0]
	v_pk_fma_f32 v[12:13], v[66:67], v[28:29], v[12:13] op_sel:[0,0,1] op_sel_hi:[1,1,0] neg_lo:[0,0,1] neg_hi:[0,0,1]
	v_accvgpr_read_b32 v66, a204
	v_mov_b32_e32 v49, v13
	v_pk_add_f32 v[12:13], v[46:47], v[48:49]
	v_pk_add_f32 v[28:29], v[46:47], v[48:49] neg_lo:[0,1] neg_hi:[0,1]
	v_pk_fma_f32 v[12:13], v[12:13], 0.5, v[8:9] op_sel_hi:[1,0,1] neg_lo:[1,0,0] neg_hi:[1,0,0]
	v_pk_mul_f32 v[28:29], v[28:29], s[2:3] op_sel_hi:[1,0]
	v_accvgpr_read_b32 v67, a205
	v_pk_add_f32 v[50:51], v[12:13], v[28:29] op_sel:[0,1] op_sel_hi:[1,0]
	v_pk_add_f32 v[52:53], v[12:13], v[28:29] op_sel:[0,1] op_sel_hi:[1,0] neg_lo:[0,1] neg_hi:[0,1]
	v_accvgpr_read_b32 v28, a208
	v_pk_mul_f32 v[12:13], v[76:77], v[10:11]
	v_accvgpr_read_b32 v29, a209
	v_pk_fma_f32 v[54:55], v[28:29], v[10:11], v[12:13] op_sel:[0,0,1] op_sel_hi:[1,1,0]
	v_pk_fma_f32 v[10:11], v[28:29], v[10:11], v[12:13] op_sel:[0,0,1] op_sel_hi:[1,1,0] neg_lo:[0,0,1] neg_hi:[0,0,1]
	s_nop 0
	v_mov_b32_e32 v55, v11
	v_accvgpr_read_b32 v10, a212
	v_accvgpr_read_b32 v11, a213
	v_pk_mul_f32 v[10:11], v[10:11], v[26:27]
	s_nop 0
	v_pk_fma_f32 v[56:57], v[78:79], v[26:27], v[10:11] op_sel:[0,0,1] op_sel_hi:[1,1,0]
	v_pk_fma_f32 v[10:11], v[78:79], v[26:27], v[10:11] op_sel:[0,0,1] op_sel_hi:[1,1,0] neg_lo:[0,0,1] neg_hi:[0,0,1]
	s_nop 0
	v_mov_b32_e32 v57, v11
	v_pk_add_f32 v[10:11], v[54:55], v[56:57]
	v_pk_add_f32 v[12:13], v[54:55], v[56:57] neg_lo:[0,1] neg_hi:[0,1]
	v_pk_fma_f32 v[10:11], v[10:11], 0.5, v[6:7] op_sel_hi:[1,0,1] neg_lo:[1,0,0] neg_hi:[1,0,0]
	v_pk_mul_f32 v[12:13], v[12:13], s[2:3] op_sel_hi:[1,0]
	v_pk_add_f32 v[6:7], v[6:7], v[54:55]
	v_pk_add_f32 v[58:59], v[10:11], v[12:13] op_sel:[0,1] op_sel_hi:[1,0]
	v_pk_add_f32 v[60:61], v[10:11], v[12:13] op_sel:[0,1] op_sel_hi:[1,0] neg_lo:[0,1] neg_hi:[0,1]
	ds_read2_b64 v[10:13], v184 offset0:126 offset1:189
	ds_read2_b64 v[26:29], v194 offset0:118 offset1:181
	;; [unrolled: 1-line block ×3, first 2 shown]
	s_waitcnt lgkmcnt(0)
	; wave barrier
	s_waitcnt lgkmcnt(0)
	v_pk_add_f32 v[6:7], v[6:7], v[56:57]
	v_pk_mul_f32 v[62:63], v[68:69], v[28:29]
	v_accvgpr_read_b32 v68, a210
	v_pk_fma_f32 v[64:65], v[66:67], v[28:29], v[62:63] op_sel:[0,0,1] op_sel_hi:[1,1,0]
	v_pk_fma_f32 v[28:29], v[66:67], v[28:29], v[62:63] op_sel:[0,0,1] op_sel_hi:[1,1,0] neg_lo:[0,0,1] neg_hi:[0,0,1]
	v_accvgpr_read_b32 v69, a211
	v_mov_b32_e32 v65, v29
	v_accvgpr_read_b32 v28, a226
	v_accvgpr_read_b32 v29, a227
	v_pk_mul_f32 v[28:29], v[28:29], v[32:33]
	s_nop 0
	v_pk_fma_f32 v[62:63], v[70:71], v[32:33], v[28:29] op_sel:[0,0,1] op_sel_hi:[1,1,0]
	v_pk_fma_f32 v[28:29], v[70:71], v[32:33], v[28:29] op_sel:[0,0,1] op_sel_hi:[1,1,0] neg_lo:[0,0,1] neg_hi:[0,0,1]
	v_pk_mul_f32 v[32:33], v[88:89], v[26:27]
	v_accvgpr_read_b32 v70, a220
	v_pk_fma_f32 v[66:67], v[68:69], v[26:27], v[32:33] op_sel:[0,0,1] op_sel_hi:[1,1,0]
	v_pk_fma_f32 v[26:27], v[68:69], v[26:27], v[32:33] op_sel:[0,0,1] op_sel_hi:[1,1,0] neg_lo:[0,0,1] neg_hi:[0,0,1]
	v_accvgpr_read_b32 v71, a221
	v_mov_b32_e32 v67, v27
	v_accvgpr_read_b32 v26, a214
	v_accvgpr_read_b32 v27, a215
	v_pk_mul_f32 v[26:27], v[26:27], v[30:31]
	v_mov_b32_e32 v63, v29
	v_pk_fma_f32 v[32:33], v[90:91], v[30:31], v[26:27] op_sel:[0,0,1] op_sel_hi:[1,1,0]
	v_pk_fma_f32 v[26:27], v[90:91], v[30:31], v[26:27] op_sel:[0,0,1] op_sel_hi:[1,1,0] neg_lo:[0,0,1] neg_hi:[0,0,1]
	v_pk_mul_f32 v[30:31], v[84:85], v[20:21]
	v_mov_b32_e32 v33, v27
	v_pk_fma_f32 v[68:69], v[70:71], v[20:21], v[30:31] op_sel:[0,0,1] op_sel_hi:[1,1,0]
	v_pk_fma_f32 v[20:21], v[70:71], v[20:21], v[30:31] op_sel:[0,0,1] op_sel_hi:[1,1,0] neg_lo:[0,0,1] neg_hi:[0,0,1]
	v_pk_add_f32 v[26:27], v[10:11], v[66:67]
	v_mov_b32_e32 v69, v21
	v_accvgpr_read_b32 v20, a222
	v_accvgpr_read_b32 v21, a223
	v_pk_mul_f32 v[20:21], v[20:21], v[24:25]
	v_pk_add_f32 v[28:29], v[12:13], v[64:65]
	v_pk_fma_f32 v[30:31], v[86:87], v[24:25], v[20:21] op_sel:[0,0,1] op_sel_hi:[1,1,0]
	v_pk_fma_f32 v[20:21], v[86:87], v[24:25], v[20:21] op_sel:[0,0,1] op_sel_hi:[1,1,0] neg_lo:[0,0,1] neg_hi:[0,0,1]
	v_pk_add_f32 v[24:25], v[34:35], v[18:19]
	v_pk_add_f32 v[18:19], v[34:35], v[18:19] neg_lo:[0,1] neg_hi:[0,1]
	v_pk_fma_f32 v[14:15], v[24:25], 0.5, v[14:15] op_sel_hi:[1,0,1] neg_lo:[1,0,0] neg_hi:[1,0,0]
	v_pk_mul_f32 v[18:19], v[18:19], s[2:3] op_sel_hi:[1,0]
	v_mov_b32_e32 v31, v21
	v_pk_add_f32 v[24:25], v[14:15], v[18:19] op_sel:[0,1] op_sel_hi:[1,0]
	v_pk_add_f32 v[14:15], v[14:15], v[18:19] op_sel:[0,1] op_sel_hi:[1,0] neg_lo:[0,1] neg_hi:[0,1]
	v_mov_b32_e32 v19, v25
	v_mov_b32_e32 v18, v14
	v_mov_b32_e32 v25, v15
	v_pk_add_f32 v[14:15], v[68:69], v[30:31]
	v_pk_add_f32 v[20:21], v[16:17], v[68:69]
	v_pk_fma_f32 v[14:15], v[14:15], 0.5, v[16:17] op_sel_hi:[1,0,1] neg_lo:[1,0,0] neg_hi:[1,0,0]
	v_pk_add_f32 v[16:17], v[68:69], v[30:31] neg_lo:[0,1] neg_hi:[0,1]
	ds_write2_b64 v184, v[22:23], v[18:19] offset1:72
	v_pk_mul_f32 v[16:17], v[16:17], s[2:3] op_sel_hi:[1,0]
	ds_write_b64 v184, v[24:25] offset:1152
	v_pk_add_f32 v[18:19], v[14:15], v[16:17] op_sel:[0,1] op_sel_hi:[1,0] neg_lo:[0,1] neg_hi:[0,1]
	v_pk_add_f32 v[14:15], v[14:15], v[16:17] op_sel:[0,1] op_sel_hi:[1,0]
	v_mov_b32_e32 v16, v18
	v_mov_b32_e32 v17, v15
	v_accvgpr_read_b32 v18, a230
	v_mov_b32_e32 v15, v19
	ds_write_b64 v18, v[14:15] offset:1152
	v_pk_add_f32 v[14:15], v[66:67], v[32:33]
	v_pk_add_f32 v[20:21], v[20:21], v[30:31]
	v_pk_fma_f32 v[10:11], v[14:15], 0.5, v[10:11] op_sel_hi:[1,0,1] neg_lo:[1,0,0] neg_hi:[1,0,0]
	v_pk_add_f32 v[14:15], v[66:67], v[32:33] neg_lo:[0,1] neg_hi:[0,1]
	ds_write2_b64 v18, v[20:21], v[16:17] offset1:72
	v_pk_mul_f32 v[14:15], v[14:15], s[2:3] op_sel_hi:[1,0]
	v_pk_add_f32 v[26:27], v[26:27], v[32:33]
	v_pk_add_f32 v[16:17], v[10:11], v[14:15] op_sel:[0,1] op_sel_hi:[1,0] neg_lo:[0,1] neg_hi:[0,1]
	v_pk_add_f32 v[10:11], v[10:11], v[14:15] op_sel:[0,1] op_sel_hi:[1,0]
	v_mov_b32_e32 v14, v16
	v_mov_b32_e32 v15, v11
	v_accvgpr_read_b32 v16, a231
	v_mov_b32_e32 v11, v17
	ds_write_b64 v16, v[10:11] offset:1152
	v_pk_add_f32 v[10:11], v[64:65], v[62:63]
	ds_write2_b64 v16, v[26:27], v[14:15] offset1:72
	v_pk_fma_f32 v[10:11], v[10:11], 0.5, v[12:13] op_sel_hi:[1,0,1] neg_lo:[1,0,0] neg_hi:[1,0,0]
	v_pk_add_f32 v[12:13], v[64:65], v[62:63] neg_lo:[0,1] neg_hi:[0,1]
	v_pk_add_f32 v[28:29], v[28:29], v[62:63]
	v_pk_mul_f32 v[12:13], v[12:13], s[2:3] op_sel_hi:[1,0]
	s_nop 0
	v_pk_add_f32 v[14:15], v[10:11], v[12:13] op_sel:[0,1] op_sel_hi:[1,0] neg_lo:[0,1] neg_hi:[0,1]
	v_pk_add_f32 v[10:11], v[10:11], v[12:13] op_sel:[0,1] op_sel_hi:[1,0]
	v_mov_b32_e32 v12, v14
	v_mov_b32_e32 v13, v11
	v_accvgpr_read_b32 v14, a232
	v_mov_b32_e32 v11, v15
	ds_write2_b64 v14, v[28:29], v[12:13] offset1:72
	ds_write_b64 v14, v[10:11] offset:1152
	v_mov_b32_e32 v10, v60
	v_mov_b32_e32 v11, v59
	v_accvgpr_read_b32 v12, a233
	ds_write2_b64 v12, v[6:7], v[10:11] offset1:72
	v_pk_add_f32 v[6:7], v[8:9], v[46:47]
	v_mov_b32_e32 v59, v61
	v_pk_add_f32 v[6:7], v[6:7], v[48:49]
	v_mov_b32_e32 v8, v52
	v_mov_b32_e32 v9, v51
	v_accvgpr_read_b32 v10, a234
	ds_write_b64 v12, v[58:59] offset:1152
	ds_write2_b64 v10, v[6:7], v[8:9] offset1:72
	v_mov_b32_e32 v51, v53
	v_mov_b32_e32 v6, v42
	;; [unrolled: 1-line block ×3, first 2 shown]
	v_accvgpr_read_b32 v8, a235
	ds_write_b64 v10, v[50:51] offset:1152
	ds_write2_b64 v8, v[4:5], v[6:7] offset1:72
	v_mov_b32_e32 v41, v43
	v_mov_b32_e32 v4, v2
	;; [unrolled: 1-line block ×3, first 2 shown]
	v_add_u32_e32 v6, 0x2800, v205
	ds_write_b64 v8, v[40:41] offset:1152
	ds_write2_b64 v6, v[0:1], v[4:5] offset0:16 offset1:88
	v_mov_b32_e32 v4, v44
	v_mov_b32_e32 v5, v3
	ds_write_b64 v205, v[4:5] offset:11520
	s_waitcnt lgkmcnt(0)
	; wave barrier
	s_waitcnt lgkmcnt(0)
	ds_read2_b64 v[20:23], v184 offset1:63
	ds_read2_b64 v[4:7], v184 offset0:126 offset1:216
	ds_read2_b64 v[24:27], v182 offset0:176 offset1:239
	;; [unrolled: 1-line block ×9, first 2 shown]
	ds_read_b64 v[46:47], v184 offset:11376
	s_and_saveexec_b64 s[2:3], s[0:1]
	s_xor_b64 s[0:1], exec, s[2:3]
	s_andn2_saveexec_b64 s[0:1], s[0:1]
	s_cbranch_execz .LBB0_7
; %bb.6:
	v_add_u32_e32 v0, 0x1300, v184
	ds_read2_b64 v[148:151], v0 offset0:13 offset1:229
	v_add_u32_e32 v0, 0x2000, v184
	ds_read2_b64 v[144:147], v0 offset0:29 offset1:245
	v_add_u32_e32 v0, 0x500, v184
	ds_read2_b64 v[0:3], v0 offset0:29 offset1:245
	ds_read_b64 v[158:159], v184 offset:11880
	s_waitcnt lgkmcnt(3)
	v_mov_b32_e32 v156, v151
	v_mov_b32_e32 v44, v148
	s_waitcnt lgkmcnt(2)
	v_mov_b32_e32 v157, v147
	v_mov_b32_e32 v151, v146
	;; [unrolled: 3-line block ×3, first 2 shown]
	s_waitcnt lgkmcnt(0)
	v_mov_b32_e32 v161, v159
.LBB0_7:
	s_or_b64 exec, exec, s[0:1]
	s_waitcnt lgkmcnt(9)
	v_pk_mul_f32 v[64:65], v[136:137], v[6:7] op_sel_hi:[1,0]
	v_mov_b32_e32 v66, v7
	v_mov_b32_e32 v48, v141
	s_waitcnt lgkmcnt(8)
	v_pk_mul_f32 v[68:69], v[138:139], v[24:25] op_sel_hi:[1,0]
	v_mov_b32_e32 v70, v25
	s_waitcnt lgkmcnt(7)
	v_pk_mul_f32 v[74:75], v[48:49], v[10:11] op_sel:[0,1] op_sel_hi:[1,0]
	v_pk_mul_f32 v[48:49], v[140:141], v[10:11] op_sel:[0,1] op_sel_hi:[1,0]
	v_pk_fma_f32 v[66:67], v[136:137], v[66:67], v[64:65] op_sel:[0,0,1] op_sel_hi:[1,1,0] neg_lo:[0,0,1] neg_hi:[0,0,1]
	v_pk_fma_f32 v[6:7], v[136:137], v[6:7], v[64:65] op_sel:[0,1,1] op_sel_hi:[1,1,0]
	v_mov_b32_e32 v48, v49
	s_waitcnt lgkmcnt(5)
	v_pk_mul_f32 v[84:85], v[96:97], v[34:35] op_sel_hi:[1,0]
	v_mov_b32_e32 v86, v35
	v_mov_b32_e32 v67, v7
	v_pk_fma_f32 v[6:7], v[138:139], v[70:71], v[68:69] op_sel:[0,0,1] op_sel_hi:[1,1,0] neg_lo:[0,0,1] neg_hi:[0,0,1]
	v_pk_fma_f32 v[24:25], v[138:139], v[24:25], v[68:69] op_sel:[0,1,1] op_sel_hi:[1,1,0]
	v_pk_mul_f32 v[72:73], v[140:141], v[10:11]
	v_pk_fma_f32 v[76:77], v[140:141], v[10:11], v[48:49] op_sel:[0,1,0] op_sel_hi:[1,0,1] neg_lo:[0,0,1] neg_hi:[0,0,1]
	v_mov_b32_e32 v10, v143
	s_waitcnt lgkmcnt(4)
	v_pk_mul_f32 v[88:89], v[98:99], v[28:29] op_sel_hi:[1,0]
	v_mov_b32_e32 v90, v29
	v_mov_b32_e32 v7, v25
	v_pk_fma_f32 v[24:25], v[96:97], v[86:87], v[84:85] op_sel:[0,0,1] op_sel_hi:[1,1,0] neg_lo:[0,0,1] neg_hi:[0,0,1]
	v_pk_fma_f32 v[34:35], v[96:97], v[34:35], v[84:85] op_sel:[0,1,1] op_sel_hi:[1,1,0]
	v_pk_mul_f32 v[78:79], v[142:143], v[40:41]
	v_pk_mul_f32 v[80:81], v[10:11], v[40:41] op_sel:[0,1] op_sel_hi:[1,0]
	v_pk_mul_f32 v[10:11], v[142:143], v[40:41] op_sel:[0,1] op_sel_hi:[1,0]
	v_mov_b32_e32 v25, v35
	v_pk_fma_f32 v[34:35], v[98:99], v[90:91], v[88:89] op_sel:[0,0,1] op_sel_hi:[1,1,0] neg_lo:[0,0,1] neg_hi:[0,0,1]
	v_pk_fma_f32 v[28:29], v[98:99], v[28:29], v[88:89] op_sel:[0,1,1] op_sel_hi:[1,1,0]
	v_mov_b32_e32 v10, v11
	v_mov_b32_e32 v35, v29
	;; [unrolled: 1-line block ×6, first 2 shown]
	v_pk_fma_f32 v[82:83], v[142:143], v[40:41], v[10:11] op_sel:[0,1,0] op_sel_hi:[1,0,1] neg_lo:[0,0,1] neg_hi:[0,0,1]
	v_pk_add_f32 v[28:29], v[66:67], v[34:35]
	v_pk_add_f32 v[64:65], v[66:67], v[34:35] neg_lo:[0,1] neg_hi:[0,1]
	v_pk_add_f32 v[68:69], v[6:7], v[24:25]
	v_pk_add_f32 v[70:71], v[6:7], v[24:25] neg_lo:[0,1] neg_hi:[0,1]
	v_pk_add_f32 v[34:35], v[78:79], v[80:81]
	v_pk_add_f32 v[6:7], v[72:73], v[74:75]
	v_mov_b32_e32 v83, v34
	v_mov_b32_e32 v77, v6
	v_pk_add_f32 v[24:25], v[82:83], v[76:77] neg_lo:[0,1] neg_hi:[0,1]
	v_mov_b32_e32 v78, v69
	v_mov_b32_e32 v79, v76
	;; [unrolled: 1-line block ×8, first 2 shown]
	s_mov_b32 s2, 0x3f08b237
	v_pk_add_f32 v[76:77], v[78:79], v[76:77]
	v_pk_add_f32 v[78:79], v[6:7], v[34:35]
	s_mov_b32 s16, 0x3d64c772
	v_pk_add_f32 v[66:67], v[66:67], v[72:73] neg_lo:[0,1] neg_hi:[0,1]
	s_mov_b32 s3, 0xbeae86e6
	v_mov_b32_e32 v72, v64
	v_mov_b32_e32 v74, v24
	;; [unrolled: 1-line block ×9, first 2 shown]
	s_mov_b32 s17, 0x3f4a47b2
	v_pk_add_f32 v[72:73], v[72:73], v[74:75] neg_lo:[0,1] neg_hi:[0,1]
	s_mov_b32 s14, s3
	s_mov_b32 s15, s2
	v_pk_add_f32 v[80:81], v[34:35], v[80:81] neg_lo:[0,1] neg_hi:[0,1]
	v_pk_add_f32 v[82:83], v[82:83], v[6:7] neg_lo:[0,1] neg_hi:[0,1]
	s_mov_b32 s18, s17
	s_mov_b32 s19, s16
	v_pk_mul_f32 v[66:67], v[66:67], s[2:3]
	v_pk_mul_f32 v[74:75], v[72:73], s[14:15]
	v_pk_add_f32 v[24:25], v[24:25], v[70:71]
	v_pk_add_f32 v[76:77], v[76:77], v[78:79]
	v_pk_mul_f32 v[78:79], v[80:81], s[16:17]
	v_pk_mul_f32 v[80:81], v[82:83], s[18:19]
	v_mov_b32_e32 v6, v69
	v_mov_b32_e32 v34, v29
	v_pk_add_f32 v[24:25], v[24:25], v[64:65]
	v_pk_add_f32 v[20:21], v[20:21], v[76:77]
	s_mov_b32 s20, 0x3f955555
	v_pk_add_f32 v[64:65], v[70:71], v[64:65] neg_lo:[0,1] neg_hi:[0,1]
	s_mov_b32 s8, 0xbf5ff5aa
	v_pk_add_f32 v[6:7], v[6:7], v[34:35] neg_lo:[0,1] neg_hi:[0,1]
	s_mov_b32 s10, 0x3f3bfb3b
	v_mov_b32_e32 v28, v80
	v_mov_b32_e32 v29, v79
	;; [unrolled: 1-line block ×4, first 2 shown]
	s_mov_b32 s0, 0xbee1c552
	v_pk_fma_f32 v[76:77], v[76:77], s[20:21], v[20:21] op_sel_hi:[1,0,1] neg_lo:[1,0,0] neg_hi:[1,0,0]
	v_pk_fma_f32 v[28:29], v[6:7], s[10:11], v[28:29] op_sel_hi:[1,0,1] neg_lo:[1,0,1] neg_hi:[1,0,1]
	;; [unrolled: 1-line block ×3, first 2 shown]
	v_pk_add_f32 v[28:29], v[28:29], v[76:77]
	v_pk_fma_f32 v[34:35], v[24:25], s[0:1], v[34:35] op_sel_hi:[1,0,1]
	v_pk_fma_f32 v[82:83], v[82:83], s[18:19], v[78:79]
	v_pk_add_f32 v[68:69], v[28:29], v[34:35]
	v_pk_add_f32 v[28:29], v[28:29], v[34:35] neg_lo:[0,1] neg_hi:[0,1]
	v_pk_fma_f32 v[72:73], v[72:73], s[14:15], v[66:67]
	v_mov_b32_e32 v34, v68
	v_mov_b32_e32 v35, v29
	;; [unrolled: 1-line block ×4, first 2 shown]
	ds_write_b64 v184, v[34:35] offset:3456
	v_pk_fma_f32 v[6:7], v[6:7], s[10:11], v[78:79] op_sel_hi:[1,0,1] neg_lo:[0,0,1] neg_hi:[0,0,1]
	v_pk_fma_f32 v[34:35], v[64:65], s[8:9], v[66:67] op_sel_hi:[1,0,1] neg_lo:[0,0,1] neg_hi:[0,0,1]
	v_pk_fma_f32 v[72:73], v[24:25], s[0:1], v[72:73] op_sel_hi:[1,0,1]
	v_pk_add_f32 v[6:7], v[6:7], v[76:77]
	v_pk_fma_f32 v[24:25], v[24:25], s[0:1], v[34:35] op_sel_hi:[1,0,1]
	s_waitcnt lgkmcnt(4)
	v_pk_mul_f32 v[92:93], v[124:125], v[16:17] op_sel_hi:[1,0]
	v_pk_add_f32 v[34:35], v[6:7], v[24:25] neg_lo:[0,1] neg_hi:[0,1]
	v_pk_add_f32 v[6:7], v[6:7], v[24:25]
	v_mov_b32_e32 v94, v17
	v_mov_b32_e32 v10, v101
	;; [unrolled: 1-line block ×4, first 2 shown]
	v_pk_mul_f32 v[104:105], v[126:127], v[26:27] op_sel_hi:[1,0]
	v_mov_b32_e32 v106, v27
	s_waitcnt lgkmcnt(3)
	v_pk_mul_f32 v[114:115], v[10:11], v[36:37] op_sel:[0,1] op_sel_hi:[1,0]
	v_pk_mul_f32 v[10:11], v[100:101], v[36:37] op_sel:[0,1] op_sel_hi:[1,0]
	v_mov_b32_e32 v24, v34
	ds_write_b64 v184, v[6:7] offset:6912
	v_pk_fma_f32 v[6:7], v[124:125], v[94:95], v[92:93] op_sel:[0,0,1] op_sel_hi:[1,1,0] neg_lo:[0,0,1] neg_hi:[0,0,1]
	v_pk_fma_f32 v[16:17], v[124:125], v[16:17], v[92:93] op_sel:[0,1,1] op_sel_hi:[1,1,0]
	v_mov_b32_e32 v10, v11
	s_waitcnt lgkmcnt(3)
	v_pk_mul_f32 v[146:147], v[120:121], v[12:13] op_sel_hi:[1,0]
	v_mov_b32_e32 v148, v13
	ds_write_b64 v184, v[24:25] offset:5184
	v_mov_b32_e32 v7, v17
	v_pk_fma_f32 v[16:17], v[126:127], v[106:107], v[104:105] op_sel:[0,0,1] op_sel_hi:[1,1,0] neg_lo:[0,0,1] neg_hi:[0,0,1]
	v_pk_fma_f32 v[24:25], v[126:127], v[26:27], v[104:105] op_sel:[0,1,1] op_sel_hi:[1,1,0]
	v_pk_mul_f32 v[112:113], v[100:101], v[36:37]
	v_pk_fma_f32 v[100:101], v[100:101], v[36:37], v[10:11] op_sel:[0,1,0] op_sel_hi:[1,0,1] neg_lo:[0,0,1] neg_hi:[0,0,1]
	v_mov_b32_e32 v10, v103
	v_pk_mul_f32 v[152:153], v[122:123], v[30:31] op_sel_hi:[1,0]
	v_mov_b32_e32 v154, v31
	v_mov_b32_e32 v17, v25
	v_pk_fma_f32 v[24:25], v[120:121], v[148:149], v[146:147] op_sel:[0,0,1] op_sel_hi:[1,1,0] neg_lo:[0,0,1] neg_hi:[0,0,1]
	v_pk_fma_f32 v[12:13], v[120:121], v[12:13], v[146:147] op_sel:[0,1,1] op_sel_hi:[1,1,0]
	v_pk_mul_f32 v[140:141], v[102:103], v[42:43]
	v_pk_mul_f32 v[142:143], v[10:11], v[42:43] op_sel:[0,1] op_sel_hi:[1,0]
	v_pk_mul_f32 v[10:11], v[102:103], v[42:43] op_sel:[0,1] op_sel_hi:[1,0]
	v_mov_b32_e32 v25, v13
	v_pk_fma_f32 v[12:13], v[122:123], v[154:155], v[152:153] op_sel:[0,0,1] op_sel_hi:[1,1,0] neg_lo:[0,0,1] neg_hi:[0,0,1]
	v_pk_fma_f32 v[26:27], v[122:123], v[30:31], v[152:153] op_sel:[0,1,1] op_sel_hi:[1,1,0]
	v_mov_b32_e32 v10, v11
	v_mov_b32_e32 v29, v69
	;; [unrolled: 1-line block ×7, first 2 shown]
	v_pk_fma_f32 v[102:103], v[102:103], v[42:43], v[10:11] op_sel:[0,1,0] op_sel_hi:[1,0,1] neg_lo:[0,0,1] neg_hi:[0,0,1]
	ds_write_b64 v184, v[28:29] offset:8640
	v_pk_add_f32 v[26:27], v[6:7], v[12:13]
	v_pk_add_f32 v[28:29], v[6:7], v[12:13] neg_lo:[0,1] neg_hi:[0,1]
	v_pk_add_f32 v[6:7], v[140:141], v[142:143]
	v_pk_add_f32 v[12:13], v[112:113], v[114:115]
	;; [unrolled: 1-line block ×4, first 2 shown]
	v_mov_b32_e32 v103, v6
	v_mov_b32_e32 v101, v12
	v_pk_add_f32 v[84:85], v[82:83], v[72:73]
	v_pk_add_f32 v[72:73], v[82:83], v[72:73] neg_lo:[0,1] neg_hi:[0,1]
	v_pk_add_f32 v[34:35], v[16:17], v[24:25] neg_lo:[0,1] neg_hi:[0,1]
	;; [unrolled: 1-line block ×3, first 2 shown]
	v_mov_b32_e32 v68, v31
	v_mov_b32_e32 v69, v100
	;; [unrolled: 1-line block ×10, first 2 shown]
	v_pk_add_f32 v[68:69], v[68:69], v[70:71]
	v_pk_add_f32 v[70:71], v[12:13], v[6:7]
	ds_write_b64 v184, v[72:73] offset:10368
	v_pk_add_f32 v[24:25], v[24:25], v[64:65] neg_lo:[0,1] neg_hi:[0,1]
	v_mov_b32_e32 v64, v28
	v_mov_b32_e32 v66, v16
	v_mov_b32_e32 v67, v35
	v_mov_b32_e32 v6, v70
	v_mov_b32_e32 v72, v31
	v_mov_b32_e32 v73, v69
	v_mov_b32_e32 v74, v27
	v_mov_b32_e32 v75, v69
	v_mov_b32_e32 v12, v70
	v_pk_add_f32 v[64:65], v[64:65], v[66:67] neg_lo:[0,1] neg_hi:[0,1]
	v_pk_add_f32 v[72:73], v[6:7], v[72:73] neg_lo:[0,1] neg_hi:[0,1]
	;; [unrolled: 1-line block ×3, first 2 shown]
	v_pk_add_f32 v[68:69], v[68:69], v[70:71]
	v_mov_b32_e32 v82, v84
	v_pk_mul_f32 v[24:25], v[24:25], s[2:3]
	v_pk_mul_f32 v[66:67], v[64:65], s[14:15]
	v_pk_add_f32 v[22:23], v[22:23], v[68:69]
	v_pk_mul_f32 v[70:71], v[72:73], s[16:17]
	v_pk_mul_f32 v[72:73], v[74:75], s[18:19]
	v_mov_b32_e32 v12, v31
	v_mov_b32_e32 v6, v27
	ds_write_b64 v184, v[82:83] offset:1728
	v_pk_add_f32 v[16:17], v[16:17], v[34:35]
	v_pk_fma_f32 v[68:69], v[68:69], s[20:21], v[22:23] op_sel_hi:[1,0,1] neg_lo:[1,0,0] neg_hi:[1,0,0]
	v_pk_fma_f32 v[74:75], v[74:75], s[18:19], v[70:71]
	v_pk_fma_f32 v[64:65], v[64:65], s[14:15], v[24:25]
	ds_write2_b64 v184, v[20:21], v[22:23] offset1:63
	v_pk_add_f32 v[22:23], v[34:35], v[28:29] neg_lo:[0,1] neg_hi:[0,1]
	v_pk_add_f32 v[6:7], v[12:13], v[6:7] neg_lo:[0,1] neg_hi:[0,1]
	v_mov_b32_e32 v12, v72
	v_mov_b32_e32 v13, v71
	;; [unrolled: 1-line block ×6, first 2 shown]
	v_pk_add_f32 v[16:17], v[16:17], v[28:29]
	v_pk_fma_f32 v[12:13], v[6:7], s[10:11], v[12:13] op_sel_hi:[1,0,1] neg_lo:[1,0,1] neg_hi:[1,0,1]
	v_pk_fma_f32 v[26:27], v[22:23], s[8:9], v[26:27] op_sel_hi:[1,0,1] neg_lo:[1,0,1] neg_hi:[1,0,1]
	;; [unrolled: 1-line block ×4, first 2 shown]
	v_pk_fma_f32 v[64:65], v[16:17], s[0:1], v[64:65] op_sel_hi:[1,0,1]
	v_pk_add_f32 v[12:13], v[12:13], v[68:69]
	v_pk_fma_f32 v[26:27], v[16:17], s[0:1], v[26:27] op_sel_hi:[1,0,1]
	v_pk_add_f32 v[6:7], v[6:7], v[68:69]
	;; [unrolled: 2-line block ×3, first 2 shown]
	v_pk_add_f32 v[12:13], v[12:13], v[26:27] neg_lo:[0,1] neg_hi:[0,1]
	v_pk_add_f32 v[22:23], v[6:7], v[16:17] neg_lo:[0,1] neg_hi:[0,1]
	v_pk_add_f32 v[6:7], v[6:7], v[16:17]
	v_pk_mul_f32 v[50:51], v[108:109], v[18:19] op_sel_hi:[1,0]
	v_mov_b32_e32 v54, v19
	v_mov_b32_e32 v10, v133
	;; [unrolled: 1-line block ×6, first 2 shown]
	v_pk_mul_f32 v[48:49], v[110:111], v[8:9] op_sel_hi:[1,0]
	v_mov_b32_e32 v52, v9
	v_pk_mul_f32 v[40:41], v[10:11], v[38:39] op_sel:[0,1] op_sel_hi:[1,0]
	v_pk_mul_f32 v[10:11], v[132:133], v[38:39] op_sel:[0,1] op_sel_hi:[1,0]
	;; [unrolled: 1-line block ×3, first 2 shown]
	ds_write_b64 v184, v[6:7] offset:7416
	ds_write_b64 v184, v[12:13] offset:9144
	v_pk_fma_f32 v[6:7], v[108:109], v[54:55], v[50:51] op_sel:[0,0,1] op_sel_hi:[1,1,0] neg_lo:[0,0,1] neg_hi:[0,0,1]
	v_pk_fma_f32 v[12:13], v[108:109], v[18:19], v[50:51] op_sel:[0,1,1] op_sel_hi:[1,1,0]
	v_mov_b32_e32 v10, v11
	v_mov_b32_e32 v42, v135
	;; [unrolled: 1-line block ×3, first 2 shown]
	v_pk_mul_f32 v[58:59], v[128:129], v[14:15] op_sel_hi:[1,0]
	v_mov_b32_e32 v62, v15
	v_mov_b32_e32 v7, v13
	v_pk_fma_f32 v[12:13], v[110:111], v[52:53], v[48:49] op_sel:[0,0,1] op_sel_hi:[1,1,0] neg_lo:[0,0,1] neg_hi:[0,0,1]
	v_pk_fma_f32 v[8:9], v[110:111], v[8:9], v[48:49] op_sel:[0,1,1] op_sel_hi:[1,1,0]
	v_pk_mul_f32 v[36:37], v[132:133], v[38:39]
	v_pk_fma_f32 v[10:11], v[132:133], v[38:39], v[10:11] op_sel:[0,1,0] op_sel_hi:[1,0,1] neg_lo:[0,0,1] neg_hi:[0,0,1]
	v_pk_mul_f32 v[38:39], v[134:135], v[32:33]
	v_pk_mul_f32 v[42:43], v[42:43], v[32:33] op_sel:[0,1] op_sel_hi:[1,0]
	v_pk_fma_f32 v[32:33], v[134:135], v[32:33], v[56:57] op_sel:[0,1,0] op_sel_hi:[1,0,1] neg_lo:[0,0,1] neg_hi:[0,0,1]
	s_waitcnt lgkmcnt(9)
	v_pk_mul_f32 v[56:57], v[130:131], v[46:47] op_sel_hi:[1,0]
	v_mov_b32_e32 v60, v47
	v_mov_b32_e32 v16, v22
	;; [unrolled: 1-line block ×3, first 2 shown]
	v_pk_fma_f32 v[8:9], v[128:129], v[62:63], v[58:59] op_sel:[0,0,1] op_sel_hi:[1,1,0] neg_lo:[0,0,1] neg_hi:[0,0,1]
	v_pk_fma_f32 v[14:15], v[128:129], v[14:15], v[58:59] op_sel:[0,1,1] op_sel_hi:[1,1,0]
	ds_write_b64 v184, v[16:17] offset:5688
	v_mov_b32_e32 v9, v15
	v_pk_fma_f32 v[14:15], v[130:131], v[60:61], v[56:57] op_sel:[0,0,1] op_sel_hi:[1,1,0] neg_lo:[0,0,1] neg_hi:[0,0,1]
	v_pk_fma_f32 v[16:17], v[130:131], v[46:47], v[56:57] op_sel:[0,1,1] op_sel_hi:[1,1,0]
	v_mov_b32_e32 v39, v6
	v_mov_b32_e32 v15, v17
	;; [unrolled: 1-line block ×5, first 2 shown]
	v_pk_add_f32 v[16:17], v[6:7], v[14:15]
	v_pk_add_f32 v[18:19], v[6:7], v[14:15] neg_lo:[0,1] neg_hi:[0,1]
	v_pk_add_f32 v[22:23], v[12:13], v[8:9]
	v_pk_add_f32 v[24:25], v[12:13], v[8:9] neg_lo:[0,1] neg_hi:[0,1]
	v_pk_add_f32 v[6:7], v[38:39], v[42:43]
	v_pk_add_f32 v[8:9], v[36:37], v[40:41]
	v_mov_b32_e32 v33, v6
	v_mov_b32_e32 v11, v8
	v_pk_add_f32 v[12:13], v[32:33], v[10:11] neg_lo:[0,1] neg_hi:[0,1]
	v_mov_b32_e32 v30, v23
	v_mov_b32_e32 v31, v10
	;; [unrolled: 1-line block ×5, first 2 shown]
	v_pk_add_f32 v[10:11], v[30:31], v[10:11]
	v_pk_add_f32 v[30:31], v[8:9], v[6:7]
	ds_write_b64 v184, v[26:27] offset:3960
	v_mov_b32_e32 v14, v12
	v_mov_b32_e32 v15, v19
	;; [unrolled: 1-line block ×7, first 2 shown]
	v_pk_add_f32 v[14:15], v[14:15], v[26:27] neg_lo:[0,1] neg_hi:[0,1]
	v_mov_b32_e32 v26, v18
	v_mov_b32_e32 v28, v12
	;; [unrolled: 1-line block ×3, first 2 shown]
	v_pk_add_f32 v[32:33], v[6:7], v[32:33] neg_lo:[0,1] neg_hi:[0,1]
	v_mov_b32_e32 v34, v17
	v_mov_b32_e32 v35, v11
	;; [unrolled: 1-line block ×3, first 2 shown]
	v_pk_add_f32 v[10:11], v[10:11], v[30:31]
	v_pk_mul_f32 v[14:15], v[14:15], s[2:3]
	v_pk_add_f32 v[26:27], v[26:27], v[28:29] neg_lo:[0,1] neg_hi:[0,1]
	v_pk_add_f32 v[12:13], v[12:13], v[24:25]
	v_pk_add_f32 v[34:35], v[34:35], v[8:9] neg_lo:[0,1] neg_hi:[0,1]
	v_pk_add_f32 v[4:5], v[4:5], v[10:11]
	v_pk_mul_f32 v[30:31], v[32:33], s[16:17]
	v_pk_mul_f32 v[28:29], v[26:27], s[14:15]
	v_pk_add_f32 v[12:13], v[12:13], v[18:19]
	v_pk_mul_f32 v[32:33], v[34:35], s[18:19]
	v_pk_fma_f32 v[10:11], v[10:11], s[20:21], v[4:5] op_sel_hi:[1,0,1] neg_lo:[1,0,0] neg_hi:[1,0,0]
	v_pk_fma_f32 v[34:35], v[34:35], s[18:19], v[30:31]
	v_pk_fma_f32 v[26:27], v[26:27], s[14:15], v[14:15]
	v_mov_b32_e32 v8, v23
	v_mov_b32_e32 v6, v17
	v_pk_add_f32 v[74:75], v[74:75], v[68:69]
	v_pk_add_f32 v[34:35], v[34:35], v[10:11]
	v_pk_fma_f32 v[26:27], v[12:13], s[0:1], v[26:27] op_sel_hi:[1,0,1]
	v_pk_add_f32 v[18:19], v[24:25], v[18:19] neg_lo:[0,1] neg_hi:[0,1]
	v_pk_add_f32 v[6:7], v[8:9], v[6:7] neg_lo:[0,1] neg_hi:[0,1]
	v_mov_b32_e32 v8, v32
	v_mov_b32_e32 v9, v31
	;; [unrolled: 1-line block ×6, first 2 shown]
	v_pk_add_f32 v[76:77], v[74:75], v[64:65]
	v_pk_add_f32 v[64:65], v[74:75], v[64:65] neg_lo:[0,1] neg_hi:[0,1]
	v_pk_add_f32 v[36:37], v[34:35], v[26:27]
	v_pk_add_f32 v[26:27], v[34:35], v[26:27] neg_lo:[0,1] neg_hi:[0,1]
	v_pk_fma_f32 v[8:9], v[6:7], s[10:11], v[8:9] op_sel_hi:[1,0,1] neg_lo:[1,0,1] neg_hi:[1,0,1]
	v_pk_fma_f32 v[16:17], v[18:19], s[8:9], v[16:17] op_sel_hi:[1,0,1] neg_lo:[1,0,1] neg_hi:[1,0,1]
	;; [unrolled: 1-line block ×4, first 2 shown]
	v_mov_b32_e32 v20, v76
	v_mov_b32_e32 v21, v65
	;; [unrolled: 1-line block ×3, first 2 shown]
	ds_write_b64 v184, v[4:5] offset:1008
	v_mov_b32_e32 v34, v36
	v_mov_b32_e32 v35, v27
	v_add_u32_e32 v4, 0x800, v184
	v_pk_add_f32 v[8:9], v[8:9], v[10:11]
	v_pk_fma_f32 v[16:17], v[12:13], s[0:1], v[16:17] op_sel_hi:[1,0,1]
	v_pk_add_f32 v[6:7], v[6:7], v[10:11]
	v_pk_fma_f32 v[10:11], v[12:13], s[0:1], v[14:15] op_sel_hi:[1,0,1]
	ds_write_b64 v184, v[64:65] offset:10872
	ds_write2_b64 v4, v[20:21], v[34:35] offset0:23 offset1:86
	v_pk_add_f32 v[20:21], v[8:9], v[16:17]
	v_pk_add_f32 v[8:9], v[8:9], v[16:17] neg_lo:[0,1] neg_hi:[0,1]
	v_pk_add_f32 v[12:13], v[6:7], v[10:11] neg_lo:[0,1] neg_hi:[0,1]
	v_pk_add_f32 v[6:7], v[6:7], v[10:11]
	v_mov_b32_e32 v16, v20
	v_mov_b32_e32 v17, v9
	;; [unrolled: 1-line block ×7, first 2 shown]
	ds_write_b64 v184, v[16:17] offset:4464
	ds_write_b64 v184, v[10:11] offset:6192
	;; [unrolled: 1-line block ×5, first 2 shown]
	s_and_saveexec_b64 s[20:21], vcc
	s_cbranch_execz .LBB0_9
; %bb.8:
	v_accvgpr_read_b32 v34, a244
	v_accvgpr_read_b32 v30, a240
	;; [unrolled: 1-line block ×5, first 2 shown]
	v_pk_mul_f32 v[8:9], v[36:37], v[158:159] op_sel_hi:[1,0]
	v_mov_b32_e32 v10, v161
	v_mov_b32_e32 v12, v161
	v_pk_mul_f32 v[6:7], v[30:31], v[2:3] op_sel_hi:[1,0]
	v_accvgpr_read_b32 v35, a245
	v_accvgpr_read_b32 v40, a250
	v_pk_fma_f32 v[10:11], v[36:37], v[10:11], v[8:9] op_sel:[0,0,1] op_sel_hi:[1,1,0] neg_lo:[0,0,1] neg_hi:[0,0,1]
	v_pk_fma_f32 v[8:9], v[36:37], v[12:13], v[8:9] op_sel:[0,0,1] op_sel_hi:[1,0,0]
	v_accvgpr_read_b32 v32, a242
	v_accvgpr_read_b32 v33, a243
	;; [unrolled: 1-line block ×4, first 2 shown]
	v_pk_mul_f32 v[26:27], v[34:35], v[150:151] op_sel:[0,1]
	v_mov_b32_e32 v11, v9
	v_pk_fma_f32 v[8:9], v[30:31], v[44:45], v[6:7] op_sel:[0,1,1] op_sel_hi:[1,1,0] neg_lo:[0,0,1] neg_hi:[0,0,1]
	v_pk_fma_f32 v[6:7], v[30:31], v[44:45], v[6:7] op_sel:[0,1,1] op_sel_hi:[1,1,0]
	v_accvgpr_read_b32 v42, a252
	v_accvgpr_read_b32 v43, a253
	v_mov_b32_e32 v16, v145
	v_accvgpr_read_b32 v39, a249
	v_mov_b32_e32 v20, v41
	v_pk_mul_f32 v[24:25], v[32:33], v[44:45] op_sel_hi:[1,0]
	v_mov_b32_e32 v9, v7
	v_pk_fma_f32 v[6:7], v[34:35], v[156:157], v[26:27] op_sel:[0,1,1] op_sel_hi:[1,1,0] neg_lo:[0,0,1] neg_hi:[0,0,1]
	v_pk_fma_f32 v[12:13], v[34:35], v[156:157], v[26:27] op_sel:[0,1,1] op_sel_hi:[1,1,0]
	v_pk_mul_f32 v[14:15], v[42:43], v[144:145]
	v_pk_mul_f32 v[16:17], v[38:39], v[16:17]
	;; [unrolled: 1-line block ×5, first 2 shown]
	v_mov_b32_e32 v7, v13
	v_pk_fma_f32 v[12:13], v[32:33], v[2:3], v[24:25] op_sel:[0,1,1] op_sel_hi:[1,1,0] neg_lo:[0,0,1] neg_hi:[0,0,1]
	v_pk_fma_f32 v[2:3], v[32:33], v[2:3], v[24:25] op_sel:[0,1,1] op_sel_hi:[1,1,0]
	v_pk_mul_f32 v[20:21], v[20:21], v[150:151]
	v_mov_b32_e32 v28, v29
	v_mov_b32_e32 v13, v3
	;; [unrolled: 1-line block ×6, first 2 shown]
	v_pk_fma_f32 v[20:21], v[40:41], v[156:157], v[20:21] neg_lo:[0,0,1] neg_hi:[0,0,1]
	v_pk_fma_f32 v[28:29], v[38:39], v[144:145], v[28:29] neg_lo:[1,0,0] neg_hi:[1,0,0]
	v_pk_add_f32 v[2:3], v[10:11], v[8:9]
	v_pk_add_f32 v[24:25], v[6:7], v[12:13]
	v_pk_add_f32 v[26:27], v[8:9], v[10:11] neg_lo:[0,1] neg_hi:[0,1]
	v_pk_add_f32 v[30:31], v[12:13], v[6:7] neg_lo:[0,1] neg_hi:[0,1]
	v_pk_add_f32 v[8:9], v[14:15], v[16:17]
	v_pk_add_f32 v[6:7], v[18:19], v[22:23]
	v_mov_b32_e32 v29, v8
	v_mov_b32_e32 v21, v6
	v_pk_add_f32 v[10:11], v[28:29], v[20:21] neg_lo:[0,1] neg_hi:[0,1]
	v_mov_b32_e32 v19, v27
	v_mov_b32_e32 v14, v10
	v_pk_add_f32 v[16:17], v[10:11], v[30:31]
	v_mov_b32_e32 v18, v10
	v_mov_b32_e32 v10, v30
	;; [unrolled: 1-line block ×3, first 2 shown]
	v_pk_add_f32 v[10:11], v[18:19], v[10:11] neg_lo:[0,1] neg_hi:[0,1]
	v_mov_b32_e32 v18, v25
	v_mov_b32_e32 v19, v20
	;; [unrolled: 1-line block ×4, first 2 shown]
	v_pk_add_f32 v[18:19], v[18:19], v[20:21]
	v_pk_add_f32 v[20:21], v[6:7], v[8:9]
	v_mov_b32_e32 v12, v26
	v_pk_add_f32 v[22:23], v[18:19], v[20:21]
	v_mov_b32_e32 v18, v3
	v_mov_b32_e32 v21, v7
	v_pk_add_f32 v[28:29], v[18:19], v[20:21] neg_lo:[0,1] neg_hi:[0,1]
	v_mov_b32_e32 v21, v9
	v_mov_b32_e32 v18, v25
	;; [unrolled: 1-line block ×3, first 2 shown]
	v_pk_add_f32 v[18:19], v[20:21], v[18:19] neg_lo:[0,1] neg_hi:[0,1]
	v_pk_add_f32 v[12:13], v[12:13], v[14:15] neg_lo:[0,1] neg_hi:[0,1]
	v_pk_mul_f32 v[10:11], v[10:11], s[2:3]
	v_pk_add_f32 v[0:1], v[0:1], v[22:23]
	v_pk_mul_f32 v[18:19], v[18:19], s[16:17]
	s_mov_b32 s2, 0xbf955555
	v_pk_mul_f32 v[14:15], v[12:13], s[14:15]
	v_pk_add_f32 v[16:17], v[16:17], v[26:27]
	v_pk_fma_f32 v[12:13], v[12:13], s[14:15], v[10:11]
	v_pk_fma_f32 v[20:21], v[28:29], s[18:19], v[18:19]
	v_pk_fma_f32 v[22:23], v[22:23], s[2:3], v[0:1] op_sel_hi:[1,0,1]
	v_pk_fma_f32 v[12:13], v[16:17], s[0:1], v[12:13] op_sel_hi:[1,0,1]
	v_pk_add_f32 v[20:21], v[20:21], v[22:23]
	v_pk_mul_f32 v[32:33], v[28:29], s[18:19]
	v_pk_add_f32 v[28:29], v[20:21], v[12:13]
	v_pk_add_f32 v[12:13], v[20:21], v[12:13] neg_lo:[0,1] neg_hi:[0,1]
	v_mov_b32_e32 v20, v28
	v_mov_b32_e32 v21, v13
	v_add_u32_e32 v2, 0x500, v184
	v_mov_b32_e32 v6, v25
	v_mov_b32_e32 v8, v3
	ds_write2_b64 v2, v[0:1], v[20:21] offset0:29 offset1:245
	v_pk_add_f32 v[0:1], v[30:31], v[26:27] neg_lo:[0,1] neg_hi:[0,1]
	v_mov_b32_e32 v20, v14
	v_mov_b32_e32 v21, v11
	v_pk_add_f32 v[2:3], v[6:7], v[8:9] neg_lo:[0,1] neg_hi:[0,1]
	v_mov_b32_e32 v6, v32
	v_mov_b32_e32 v7, v19
	v_mov_b32_e32 v11, v15
	v_mov_b32_e32 v19, v33
	v_pk_fma_f32 v[20:21], v[0:1], s[8:9], v[20:21] op_sel_hi:[1,0,1] neg_lo:[1,0,1] neg_hi:[1,0,1]
	v_pk_fma_f32 v[6:7], v[2:3], s[10:11], v[6:7] op_sel_hi:[1,0,1] neg_lo:[1,0,1] neg_hi:[1,0,1]
	v_pk_fma_f32 v[0:1], v[0:1], s[8:9], v[10:11] op_sel_hi:[1,0,1] neg_lo:[0,0,1] neg_hi:[0,0,1]
	v_pk_fma_f32 v[2:3], v[2:3], s[10:11], v[18:19] op_sel_hi:[1,0,1] neg_lo:[0,0,1] neg_hi:[0,0,1]
	v_pk_fma_f32 v[20:21], v[16:17], s[0:1], v[20:21] op_sel_hi:[1,0,1]
	v_pk_add_f32 v[6:7], v[6:7], v[22:23]
	v_pk_fma_f32 v[0:1], v[16:17], s[0:1], v[0:1] op_sel_hi:[1,0,1]
	v_pk_add_f32 v[2:3], v[2:3], v[22:23]
	v_pk_add_f32 v[8:9], v[6:7], v[20:21]
	v_pk_add_f32 v[6:7], v[6:7], v[20:21] neg_lo:[0,1] neg_hi:[0,1]
	v_pk_add_f32 v[10:11], v[2:3], v[0:1] neg_lo:[0,1] neg_hi:[0,1]
	v_pk_add_f32 v[0:1], v[2:3], v[0:1]
	v_mov_b32_e32 v20, v8
	v_mov_b32_e32 v21, v7
	;; [unrolled: 1-line block ×4, first 2 shown]
	v_add_u32_e32 v1, 0x1300, v184
	ds_write2_b64 v1, v[20:21], v[2:3] offset0:13 offset1:229
	v_mov_b32_e32 v1, v11
	v_mov_b32_e32 v7, v9
	v_add_u32_e32 v2, 0x2000, v184
	v_mov_b32_e32 v13, v29
	ds_write2_b64 v2, v[0:1], v[6:7] offset0:29 offset1:245
	ds_write_b64 v184, v[12:13] offset:11880
.LBB0_9:
	s_or_b64 exec, exec, s[20:21]
	v_accvgpr_read_b32 v8, a16
	s_waitcnt lgkmcnt(0)
	; wave barrier
	s_waitcnt lgkmcnt(0)
	ds_read2_b64 v[0:3], v184 offset1:63
	v_mad_u64_u32 v[12:13], s[0:1], s6, v8, 0
	v_mov_b32_e32 v6, v13
	v_mad_u64_u32 v[6:7], s[0:1], s7, v8, v[6:7]
	v_accvgpr_read_b32 v8, a30
	v_accvgpr_read_b32 v9, a31
	s_waitcnt lgkmcnt(0)
	v_mul_f32_e32 v5, v9, v1
	v_fmac_f32_e32 v5, v8, v0
	v_mul_f32_e32 v0, v9, v0
	s_mov_b32 s0, 0x6b015ac0
	v_fma_f32 v0, v8, v1, -v0
	s_mov_b32 s1, 0x3f45ac05
	v_cvt_f64_f32_e32 v[0:1], v0
	v_mov_b32_e32 v13, v6
	v_cvt_f64_f32_e32 v[6:7], v5
	v_mul_f64 v[0:1], v[0:1], s[0:1]
	v_mul_f64 v[6:7], v[6:7], s[0:1]
	v_cvt_f32_f64_e32 v15, v[0:1]
	v_mad_u64_u32 v[0:1], s[2:3], s4, v204, 0
	v_cvt_f32_f64_e32 v14, v[6:7]
	v_mov_b32_e32 v6, v1
	v_add_u32_e32 v1, 0x1400, v184
	v_mad_u64_u32 v[16:17], s[2:3], s5, v204, v[6:7]
	ds_read2_b64 v[6:9], v1 offset0:116 offset1:179
	v_mov_b32_e32 v10, s12
	v_mov_b32_e32 v11, s13
	v_lshl_add_u64 v[10:11], v[12:13], 3, v[10:11]
	v_accvgpr_read_b32 v12, a26
	v_accvgpr_read_b32 v13, a27
	s_waitcnt lgkmcnt(0)
	v_mul_f32_e32 v5, v13, v7
	v_mov_b32_e32 v1, v16
	v_fmac_f32_e32 v5, v12, v6
	v_lshl_add_u64 v[0:1], v[0:1], 3, v[10:11]
	v_cvt_f64_f32_e32 v[10:11], v5
	v_mul_f32_e32 v5, v13, v6
	global_store_dwordx2 v[0:1], v[14:15], off
	v_fma_f32 v5, v12, v7, -v5
	v_mov_b32_e32 v14, 0x17a0
	v_cvt_f64_f32_e32 v[6:7], v5
	v_mad_u64_u32 v[0:1], s[2:3], s4, v14, v[0:1]
	v_mul_f64 v[10:11], v[10:11], s[0:1]
	v_mul_f64 v[6:7], v[6:7], s[0:1]
	s_mul_i32 s2, s5, 0x17a0
	v_cvt_f32_f64_e32 v10, v[10:11]
	v_cvt_f32_f64_e32 v11, v[6:7]
	v_add_u32_e32 v1, s2, v1
	global_store_dwordx2 v[0:1], v[10:11], off
	v_accvgpr_read_b32 v10, a24
	v_accvgpr_read_b32 v11, a25
	v_mul_f32_e32 v5, v11, v3
	v_fmac_f32_e32 v5, v10, v2
	v_mul_f32_e32 v2, v11, v2
	v_fma_f32 v2, v10, v3, -v2
	v_cvt_f64_f32_e32 v[6:7], v5
	v_cvt_f64_f32_e32 v[2:3], v2
	v_mul_f64 v[6:7], v[6:7], s[0:1]
	v_mul_f64 v[2:3], v[2:3], s[0:1]
	v_cvt_f32_f64_e32 v6, v[6:7]
	v_cvt_f32_f64_e32 v7, v[2:3]
	v_accvgpr_read_b32 v2, a22
	v_mov_b32_e32 v15, 0xffffea58
	v_accvgpr_read_b32 v3, a23
	v_mad_u64_u32 v[10:11], s[6:7], s4, v15, v[0:1]
	v_mul_f32_e32 v0, v3, v9
	s_mul_i32 s3, s5, 0xffffea58
	v_fmac_f32_e32 v0, v2, v8
	s_sub_i32 s3, s3, s4
	v_cvt_f64_f32_e32 v[0:1], v0
	v_add_u32_e32 v11, s3, v11
	v_mul_f64 v[0:1], v[0:1], s[0:1]
	global_store_dwordx2 v[10:11], v[6:7], off
	v_cvt_f32_f64_e32 v6, v[0:1]
	v_mul_f32_e32 v0, v3, v8
	v_fma_f32 v0, v2, v9, -v0
	v_cvt_f64_f32_e32 v[0:1], v0
	v_mul_f64 v[0:1], v[0:1], s[0:1]
	v_cvt_f32_f64_e32 v7, v[0:1]
	ds_read2_b64 v[0:3], v184 offset0:126 offset1:189
	v_accvgpr_read_b32 v8, a18
	v_accvgpr_read_b32 v9, a19
	v_mad_u64_u32 v[10:11], s[6:7], s4, v14, v[10:11]
	s_waitcnt lgkmcnt(0)
	v_mul_f32_e32 v5, v9, v1
	v_fmac_f32_e32 v5, v8, v0
	v_mul_f32_e32 v0, v9, v0
	v_fma_f32 v0, v8, v1, -v0
	v_add_u32_e32 v11, s2, v11
	v_cvt_f64_f32_e32 v[0:1], v0
	global_store_dwordx2 v[10:11], v[6:7], off
	v_cvt_f64_f32_e32 v[6:7], v5
	v_mul_f64 v[0:1], v[0:1], s[0:1]
	v_mul_f64 v[6:7], v[6:7], s[0:1]
	v_cvt_f32_f64_e32 v13, v[0:1]
	v_add_u32_e32 v0, 0x1800, v184
	v_cvt_f32_f64_e32 v12, v[6:7]
	ds_read2_b64 v[6:9], v0 offset0:114 offset1:177
	v_mad_u64_u32 v[0:1], s[6:7], s4, v15, v[10:11]
	v_add_u32_e32 v1, s3, v1
	global_store_dwordx2 v[0:1], v[12:13], off
	v_accvgpr_read_b32 v12, a12
	v_accvgpr_read_b32 v13, a13
	s_waitcnt lgkmcnt(0)
	v_mul_f32_e32 v5, v13, v7
	v_fmac_f32_e32 v5, v12, v6
	v_cvt_f64_f32_e32 v[10:11], v5
	v_mul_f32_e32 v5, v13, v6
	v_fma_f32 v5, v12, v7, -v5
	v_cvt_f64_f32_e32 v[6:7], v5
	v_mul_f64 v[10:11], v[10:11], s[0:1]
	v_mul_f64 v[6:7], v[6:7], s[0:1]
	v_mad_u64_u32 v[0:1], s[6:7], s4, v14, v[0:1]
	v_cvt_f32_f64_e32 v10, v[10:11]
	v_cvt_f32_f64_e32 v11, v[6:7]
	v_add_u32_e32 v1, s2, v1
	global_store_dwordx2 v[0:1], v[10:11], off
	v_accvgpr_read_b32 v10, a10
	v_accvgpr_read_b32 v11, a11
	v_mul_f32_e32 v5, v11, v3
	v_fmac_f32_e32 v5, v10, v2
	v_mul_f32_e32 v2, v11, v2
	v_fma_f32 v2, v10, v3, -v2
	v_cvt_f64_f32_e32 v[6:7], v5
	v_cvt_f64_f32_e32 v[2:3], v2
	v_mul_f64 v[6:7], v[6:7], s[0:1]
	v_mul_f64 v[2:3], v[2:3], s[0:1]
	v_cvt_f32_f64_e32 v6, v[6:7]
	v_cvt_f32_f64_e32 v7, v[2:3]
	v_accvgpr_read_b32 v2, a8
	v_accvgpr_read_b32 v3, a9
	v_mad_u64_u32 v[10:11], s[6:7], s4, v15, v[0:1]
	v_mul_f32_e32 v0, v3, v9
	v_fmac_f32_e32 v0, v2, v8
	v_cvt_f64_f32_e32 v[0:1], v0
	v_add_u32_e32 v11, s3, v11
	v_mul_f64 v[0:1], v[0:1], s[0:1]
	global_store_dwordx2 v[10:11], v[6:7], off
	v_cvt_f32_f64_e32 v6, v[0:1]
	v_mul_f32_e32 v0, v3, v8
	v_fma_f32 v0, v2, v9, -v0
	v_cvt_f64_f32_e32 v[0:1], v0
	v_mul_f64 v[0:1], v[0:1], s[0:1]
	v_cvt_f32_f64_e32 v7, v[0:1]
	v_add_u32_e32 v0, 0x400, v184
	ds_read2_b64 v[0:3], v0 offset0:124 offset1:187
	v_accvgpr_read_b32 v8, a48
	v_accvgpr_read_b32 v9, a49
	v_mad_u64_u32 v[10:11], s[6:7], s4, v14, v[10:11]
	s_waitcnt lgkmcnt(0)
	v_mul_f32_e32 v5, v9, v1
	v_fmac_f32_e32 v5, v8, v0
	v_mul_f32_e32 v0, v9, v0
	v_fma_f32 v0, v8, v1, -v0
	v_add_u32_e32 v11, s2, v11
	v_cvt_f64_f32_e32 v[0:1], v0
	global_store_dwordx2 v[10:11], v[6:7], off
	v_cvt_f64_f32_e32 v[6:7], v5
	v_mul_f64 v[0:1], v[0:1], s[0:1]
	v_mul_f64 v[6:7], v[6:7], s[0:1]
	v_cvt_f32_f64_e32 v13, v[0:1]
	v_add_u32_e32 v0, 0x1c00, v184
	v_cvt_f32_f64_e32 v12, v[6:7]
	ds_read2_b64 v[6:9], v0 offset0:112 offset1:175
	v_mad_u64_u32 v[0:1], s[6:7], s4, v15, v[10:11]
	v_add_u32_e32 v1, s3, v1
	global_store_dwordx2 v[0:1], v[12:13], off
	v_accvgpr_read_b32 v13, a7
	v_accvgpr_read_b32 v12, a6
	s_waitcnt lgkmcnt(0)
	v_mul_f32_e32 v5, v13, v7
	v_fmac_f32_e32 v5, v12, v6
	v_cvt_f64_f32_e32 v[10:11], v5
	v_mul_f32_e32 v5, v13, v6
	v_fma_f32 v5, v12, v7, -v5
	v_cvt_f64_f32_e32 v[6:7], v5
	v_mul_f64 v[10:11], v[10:11], s[0:1]
	v_mul_f64 v[6:7], v[6:7], s[0:1]
	v_mad_u64_u32 v[0:1], s[6:7], s4, v14, v[0:1]
	v_cvt_f32_f64_e32 v10, v[10:11]
	v_cvt_f32_f64_e32 v11, v[6:7]
	v_add_u32_e32 v1, s2, v1
	global_store_dwordx2 v[0:1], v[10:11], off
	v_accvgpr_read_b32 v10, a46
	v_accvgpr_read_b32 v11, a47
	v_mul_f32_e32 v5, v11, v3
	v_fmac_f32_e32 v5, v10, v2
	v_mul_f32_e32 v2, v11, v2
	v_fma_f32 v2, v10, v3, -v2
	v_cvt_f64_f32_e32 v[6:7], v5
	v_cvt_f64_f32_e32 v[2:3], v2
	v_mul_f64 v[6:7], v[6:7], s[0:1]
	v_mul_f64 v[2:3], v[2:3], s[0:1]
	v_cvt_f32_f64_e32 v6, v[6:7]
	v_cvt_f32_f64_e32 v7, v[2:3]
	v_accvgpr_read_b32 v2, a44
	v_accvgpr_read_b32 v3, a45
	v_mad_u64_u32 v[10:11], s[6:7], s4, v15, v[0:1]
	v_mul_f32_e32 v0, v3, v9
	v_fmac_f32_e32 v0, v2, v8
	v_cvt_f64_f32_e32 v[0:1], v0
	v_add_u32_e32 v11, s3, v11
	v_mul_f64 v[0:1], v[0:1], s[0:1]
	global_store_dwordx2 v[10:11], v[6:7], off
	v_cvt_f32_f64_e32 v6, v[0:1]
	v_mul_f32_e32 v0, v3, v8
	v_fma_f32 v0, v2, v9, -v0
	v_cvt_f64_f32_e32 v[0:1], v0
	v_mul_f64 v[0:1], v[0:1], s[0:1]
	v_cvt_f32_f64_e32 v7, v[0:1]
	ds_read2_b64 v[0:3], v4 offset0:122 offset1:185
	v_mad_u64_u32 v[8:9], s[6:7], s4, v14, v[10:11]
	v_add_u32_e32 v9, s2, v9
	global_store_dwordx2 v[8:9], v[6:7], off
	v_accvgpr_read_b32 v6, a42
	v_accvgpr_read_b32 v7, a43
	s_waitcnt lgkmcnt(0)
	v_mul_f32_e32 v4, v7, v1
	v_fmac_f32_e32 v4, v6, v0
	v_mul_f32_e32 v0, v7, v0
	v_fma_f32 v0, v6, v1, -v0
	v_cvt_f64_f32_e32 v[0:1], v0
	v_cvt_f64_f32_e32 v[4:5], v4
	v_mul_f64 v[0:1], v[0:1], s[0:1]
	v_mul_f64 v[4:5], v[4:5], s[0:1]
	v_cvt_f32_f64_e32 v11, v[0:1]
	v_add_u32_e32 v0, 0x2000, v184
	v_cvt_f32_f64_e32 v10, v[4:5]
	ds_read2_b64 v[4:7], v0 offset0:110 offset1:173
	v_mad_u64_u32 v[0:1], s[6:7], s4, v15, v[8:9]
	v_add_u32_e32 v1, s3, v1
	global_store_dwordx2 v[0:1], v[10:11], off
	v_accvgpr_read_b32 v10, a40
	v_accvgpr_read_b32 v11, a41
	s_waitcnt lgkmcnt(0)
	v_mul_f32_e32 v8, v11, v5
	v_fmac_f32_e32 v8, v10, v4
	v_mul_f32_e32 v4, v11, v4
	v_fma_f32 v4, v10, v5, -v4
	v_cvt_f64_f32_e32 v[8:9], v8
	v_cvt_f64_f32_e32 v[4:5], v4
	v_mul_f64 v[8:9], v[8:9], s[0:1]
	v_mul_f64 v[4:5], v[4:5], s[0:1]
	v_mad_u64_u32 v[0:1], s[6:7], s4, v14, v[0:1]
	v_cvt_f32_f64_e32 v8, v[8:9]
	v_cvt_f32_f64_e32 v9, v[4:5]
	v_add_u32_e32 v1, s2, v1
	global_store_dwordx2 v[0:1], v[8:9], off
	v_accvgpr_read_b32 v8, a38
	v_accvgpr_read_b32 v9, a39
	v_mul_f32_e32 v4, v9, v3
	v_fmac_f32_e32 v4, v8, v2
	v_mul_f32_e32 v2, v9, v2
	v_fma_f32 v2, v8, v3, -v2
	v_cvt_f64_f32_e32 v[4:5], v4
	v_cvt_f64_f32_e32 v[2:3], v2
	v_mul_f64 v[4:5], v[4:5], s[0:1]
	v_mul_f64 v[2:3], v[2:3], s[0:1]
	v_cvt_f32_f64_e32 v4, v[4:5]
	v_cvt_f32_f64_e32 v5, v[2:3]
	v_accvgpr_read_b32 v2, a36
	v_accvgpr_read_b32 v3, a37
	v_mad_u64_u32 v[8:9], s[6:7], s4, v15, v[0:1]
	v_mul_f32_e32 v0, v3, v7
	v_fmac_f32_e32 v0, v2, v6
	v_cvt_f64_f32_e32 v[0:1], v0
	v_add_u32_e32 v9, s3, v9
	v_mul_f64 v[0:1], v[0:1], s[0:1]
	global_store_dwordx2 v[8:9], v[4:5], off
	v_cvt_f32_f64_e32 v4, v[0:1]
	v_mul_f32_e32 v0, v3, v6
	v_fma_f32 v0, v2, v7, -v0
	v_cvt_f64_f32_e32 v[0:1], v0
	v_mul_f64 v[0:1], v[0:1], s[0:1]
	v_cvt_f32_f64_e32 v5, v[0:1]
	v_add_u32_e32 v0, 0xc00, v184
	ds_read2_b64 v[0:3], v0 offset0:120 offset1:183
	v_mad_u64_u32 v[8:9], s[6:7], s4, v14, v[8:9]
	v_accvgpr_read_b32 v6, a34
	v_add_u32_e32 v9, s2, v9
	v_accvgpr_read_b32 v7, a35
	global_store_dwordx2 v[8:9], v[4:5], off
	s_waitcnt lgkmcnt(0)
	v_mul_f32_e32 v4, v7, v1
	v_fmac_f32_e32 v4, v6, v0
	v_mul_f32_e32 v0, v7, v0
	v_fma_f32 v0, v6, v1, -v0
	v_cvt_f64_f32_e32 v[0:1], v0
	v_cvt_f64_f32_e32 v[4:5], v4
	v_mul_f64 v[0:1], v[0:1], s[0:1]
	v_mul_f64 v[4:5], v[4:5], s[0:1]
	v_cvt_f32_f64_e32 v11, v[0:1]
	v_add_u32_e32 v0, 0x2400, v184
	v_cvt_f32_f64_e32 v10, v[4:5]
	ds_read2_b64 v[4:7], v0 offset0:108 offset1:171
	v_mad_u64_u32 v[0:1], s[6:7], s4, v15, v[8:9]
	v_add_u32_e32 v1, s3, v1
	global_store_dwordx2 v[0:1], v[10:11], off
	v_accvgpr_read_b32 v10, a32
	v_accvgpr_read_b32 v11, a33
	s_waitcnt lgkmcnt(0)
	v_mul_f32_e32 v8, v11, v5
	v_fmac_f32_e32 v8, v10, v4
	v_mul_f32_e32 v4, v11, v4
	v_fma_f32 v4, v10, v5, -v4
	v_cvt_f64_f32_e32 v[8:9], v8
	v_cvt_f64_f32_e32 v[4:5], v4
	v_mul_f64 v[8:9], v[8:9], s[0:1]
	v_mul_f64 v[4:5], v[4:5], s[0:1]
	v_mad_u64_u32 v[0:1], s[6:7], s4, v14, v[0:1]
	v_cvt_f32_f64_e32 v8, v[8:9]
	v_cvt_f32_f64_e32 v9, v[4:5]
	v_add_u32_e32 v1, s2, v1
	global_store_dwordx2 v[0:1], v[8:9], off
	v_accvgpr_read_b32 v9, a5
	v_accvgpr_read_b32 v8, a4
	v_mul_f32_e32 v4, v9, v3
	v_fmac_f32_e32 v4, v8, v2
	v_mul_f32_e32 v2, v9, v2
	v_fma_f32 v2, v8, v3, -v2
	v_cvt_f64_f32_e32 v[4:5], v4
	v_cvt_f64_f32_e32 v[2:3], v2
	v_mul_f64 v[4:5], v[4:5], s[0:1]
	v_mul_f64 v[2:3], v[2:3], s[0:1]
	v_cvt_f32_f64_e32 v4, v[4:5]
	v_cvt_f32_f64_e32 v5, v[2:3]
	v_accvgpr_read_b32 v2, a28
	v_accvgpr_read_b32 v3, a29
	v_mad_u64_u32 v[8:9], s[6:7], s4, v15, v[0:1]
	v_mul_f32_e32 v0, v3, v7
	v_fmac_f32_e32 v0, v2, v6
	v_cvt_f64_f32_e32 v[0:1], v0
	v_add_u32_e32 v9, s3, v9
	v_mul_f64 v[0:1], v[0:1], s[0:1]
	global_store_dwordx2 v[8:9], v[4:5], off
	v_cvt_f32_f64_e32 v4, v[0:1]
	v_mul_f32_e32 v0, v3, v6
	v_fma_f32 v0, v2, v7, -v0
	v_cvt_f64_f32_e32 v[0:1], v0
	v_mul_f64 v[0:1], v[0:1], s[0:1]
	v_cvt_f32_f64_e32 v5, v[0:1]
	v_add_u32_e32 v0, 0x1000, v184
	ds_read2_b64 v[0:3], v0 offset0:118 offset1:181
	v_mad_u64_u32 v[8:9], s[6:7], s4, v14, v[8:9]
	v_add_u32_e32 v9, s2, v9
	v_accvgpr_read_b32 v7, a3
	global_store_dwordx2 v[8:9], v[4:5], off
	v_accvgpr_read_b32 v6, a2
	s_waitcnt lgkmcnt(0)
	v_mul_f32_e32 v4, v7, v1
	v_fmac_f32_e32 v4, v6, v0
	v_mul_f32_e32 v0, v7, v0
	v_fma_f32 v0, v6, v1, -v0
	v_cvt_f64_f32_e32 v[0:1], v0
	v_cvt_f64_f32_e32 v[4:5], v4
	v_mul_f64 v[0:1], v[0:1], s[0:1]
	v_mul_f64 v[4:5], v[4:5], s[0:1]
	v_cvt_f32_f64_e32 v11, v[0:1]
	v_add_u32_e32 v0, 0x2800, v184
	v_cvt_f32_f64_e32 v10, v[4:5]
	ds_read2_b64 v[4:7], v0 offset0:106 offset1:169
	v_mad_u64_u32 v[0:1], s[6:7], s4, v15, v[8:9]
	v_add_u32_e32 v1, s3, v1
	global_store_dwordx2 v[0:1], v[10:11], off
	v_accvgpr_read_b32 v10, a20
	v_accvgpr_read_b32 v11, a21
	s_waitcnt lgkmcnt(0)
	v_mul_f32_e32 v8, v11, v5
	v_fmac_f32_e32 v8, v10, v4
	v_mul_f32_e32 v4, v11, v4
	v_fma_f32 v4, v10, v5, -v4
	v_cvt_f64_f32_e32 v[8:9], v8
	v_cvt_f64_f32_e32 v[4:5], v4
	v_mul_f64 v[8:9], v[8:9], s[0:1]
	v_mul_f64 v[4:5], v[4:5], s[0:1]
	v_mad_u64_u32 v[0:1], s[6:7], s4, v14, v[0:1]
	v_cvt_f32_f64_e32 v8, v[8:9]
	v_cvt_f32_f64_e32 v9, v[4:5]
	v_add_u32_e32 v1, s2, v1
	global_store_dwordx2 v[0:1], v[8:9], off
	v_accvgpr_read_b32 v9, a1
	v_accvgpr_read_b32 v8, a0
	v_mul_f32_e32 v4, v9, v3
	v_fmac_f32_e32 v4, v8, v2
	v_mul_f32_e32 v2, v9, v2
	v_fma_f32 v2, v8, v3, -v2
	v_cvt_f64_f32_e32 v[4:5], v4
	v_cvt_f64_f32_e32 v[2:3], v2
	v_mul_f64 v[4:5], v[4:5], s[0:1]
	v_mul_f64 v[2:3], v[2:3], s[0:1]
	v_mad_u64_u32 v[0:1], s[6:7], s4, v15, v[0:1]
	v_cvt_f32_f64_e32 v4, v[4:5]
	v_cvt_f32_f64_e32 v5, v[2:3]
	v_add_u32_e32 v1, s3, v1
	global_store_dwordx2 v[0:1], v[4:5], off
	v_accvgpr_read_b32 v4, a14
	v_accvgpr_read_b32 v5, a15
	v_mul_f32_e32 v2, v5, v7
	v_fmac_f32_e32 v2, v4, v6
	v_cvt_f64_f32_e32 v[2:3], v2
	v_mul_f64 v[2:3], v[2:3], s[0:1]
	v_cvt_f32_f64_e32 v2, v[2:3]
	v_mul_f32_e32 v3, v5, v6
	v_fma_f32 v3, v4, v7, -v3
	v_cvt_f64_f32_e32 v[4:5], v3
	v_mul_f64 v[4:5], v[4:5], s[0:1]
	v_mad_u64_u32 v[0:1], s[0:1], s4, v14, v[0:1]
	v_cvt_f32_f64_e32 v3, v[4:5]
	v_add_u32_e32 v1, s2, v1
	global_store_dwordx2 v[0:1], v[2:3], off
.LBB0_10:
	s_endpgm
	.section	.rodata,"a",@progbits
	.p2align	6, 0x0
	.amdhsa_kernel bluestein_single_fwd_len1512_dim1_sp_op_CI_CI
		.amdhsa_group_segment_fixed_size 12096
		.amdhsa_private_segment_fixed_size 0
		.amdhsa_kernarg_size 104
		.amdhsa_user_sgpr_count 2
		.amdhsa_user_sgpr_dispatch_ptr 0
		.amdhsa_user_sgpr_queue_ptr 0
		.amdhsa_user_sgpr_kernarg_segment_ptr 1
		.amdhsa_user_sgpr_dispatch_id 0
		.amdhsa_user_sgpr_kernarg_preload_length 0
		.amdhsa_user_sgpr_kernarg_preload_offset 0
		.amdhsa_user_sgpr_private_segment_size 0
		.amdhsa_uses_dynamic_stack 0
		.amdhsa_enable_private_segment 0
		.amdhsa_system_sgpr_workgroup_id_x 1
		.amdhsa_system_sgpr_workgroup_id_y 0
		.amdhsa_system_sgpr_workgroup_id_z 0
		.amdhsa_system_sgpr_workgroup_info 0
		.amdhsa_system_vgpr_workitem_id 0
		.amdhsa_next_free_vgpr 510
		.amdhsa_next_free_sgpr 26
		.amdhsa_accum_offset 256
		.amdhsa_reserve_vcc 1
		.amdhsa_float_round_mode_32 0
		.amdhsa_float_round_mode_16_64 0
		.amdhsa_float_denorm_mode_32 3
		.amdhsa_float_denorm_mode_16_64 3
		.amdhsa_dx10_clamp 1
		.amdhsa_ieee_mode 1
		.amdhsa_fp16_overflow 0
		.amdhsa_tg_split 0
		.amdhsa_exception_fp_ieee_invalid_op 0
		.amdhsa_exception_fp_denorm_src 0
		.amdhsa_exception_fp_ieee_div_zero 0
		.amdhsa_exception_fp_ieee_overflow 0
		.amdhsa_exception_fp_ieee_underflow 0
		.amdhsa_exception_fp_ieee_inexact 0
		.amdhsa_exception_int_div_zero 0
	.end_amdhsa_kernel
	.text
.Lfunc_end0:
	.size	bluestein_single_fwd_len1512_dim1_sp_op_CI_CI, .Lfunc_end0-bluestein_single_fwd_len1512_dim1_sp_op_CI_CI
                                        ; -- End function
	.section	.AMDGPU.csdata,"",@progbits
; Kernel info:
; codeLenInByte = 31072
; NumSgprs: 32
; NumVgprs: 256
; NumAgprs: 254
; TotalNumVgprs: 510
; ScratchSize: 0
; MemoryBound: 0
; FloatMode: 240
; IeeeMode: 1
; LDSByteSize: 12096 bytes/workgroup (compile time only)
; SGPRBlocks: 3
; VGPRBlocks: 63
; NumSGPRsForWavesPerEU: 32
; NumVGPRsForWavesPerEU: 510
; AccumOffset: 256
; Occupancy: 1
; WaveLimiterHint : 1
; COMPUTE_PGM_RSRC2:SCRATCH_EN: 0
; COMPUTE_PGM_RSRC2:USER_SGPR: 2
; COMPUTE_PGM_RSRC2:TRAP_HANDLER: 0
; COMPUTE_PGM_RSRC2:TGID_X_EN: 1
; COMPUTE_PGM_RSRC2:TGID_Y_EN: 0
; COMPUTE_PGM_RSRC2:TGID_Z_EN: 0
; COMPUTE_PGM_RSRC2:TIDIG_COMP_CNT: 0
; COMPUTE_PGM_RSRC3_GFX90A:ACCUM_OFFSET: 63
; COMPUTE_PGM_RSRC3_GFX90A:TG_SPLIT: 0
	.text
	.p2alignl 6, 3212836864
	.fill 256, 4, 3212836864
	.type	__hip_cuid_4c8fcfe86fcf1ee8,@object ; @__hip_cuid_4c8fcfe86fcf1ee8
	.section	.bss,"aw",@nobits
	.globl	__hip_cuid_4c8fcfe86fcf1ee8
__hip_cuid_4c8fcfe86fcf1ee8:
	.byte	0                               ; 0x0
	.size	__hip_cuid_4c8fcfe86fcf1ee8, 1

	.ident	"AMD clang version 19.0.0git (https://github.com/RadeonOpenCompute/llvm-project roc-6.4.0 25133 c7fe45cf4b819c5991fe208aaa96edf142730f1d)"
	.section	".note.GNU-stack","",@progbits
	.addrsig
	.addrsig_sym __hip_cuid_4c8fcfe86fcf1ee8
	.amdgpu_metadata
---
amdhsa.kernels:
  - .agpr_count:     254
    .args:
      - .actual_access:  read_only
        .address_space:  global
        .offset:         0
        .size:           8
        .value_kind:     global_buffer
      - .actual_access:  read_only
        .address_space:  global
        .offset:         8
        .size:           8
        .value_kind:     global_buffer
      - .actual_access:  read_only
        .address_space:  global
        .offset:         16
        .size:           8
        .value_kind:     global_buffer
      - .actual_access:  read_only
        .address_space:  global
        .offset:         24
        .size:           8
        .value_kind:     global_buffer
      - .actual_access:  read_only
        .address_space:  global
        .offset:         32
        .size:           8
        .value_kind:     global_buffer
      - .offset:         40
        .size:           8
        .value_kind:     by_value
      - .address_space:  global
        .offset:         48
        .size:           8
        .value_kind:     global_buffer
      - .address_space:  global
        .offset:         56
        .size:           8
        .value_kind:     global_buffer
      - .address_space:  global
        .offset:         64
        .size:           8
        .value_kind:     global_buffer
      - .address_space:  global
        .offset:         72
        .size:           8
        .value_kind:     global_buffer
      - .offset:         80
        .size:           4
        .value_kind:     by_value
      - .address_space:  global
        .offset:         88
        .size:           8
        .value_kind:     global_buffer
      - .address_space:  global
        .offset:         96
        .size:           8
        .value_kind:     global_buffer
    .group_segment_fixed_size: 12096
    .kernarg_segment_align: 8
    .kernarg_segment_size: 104
    .language:       OpenCL C
    .language_version:
      - 2
      - 0
    .max_flat_workgroup_size: 63
    .name:           bluestein_single_fwd_len1512_dim1_sp_op_CI_CI
    .private_segment_fixed_size: 0
    .sgpr_count:     32
    .sgpr_spill_count: 0
    .symbol:         bluestein_single_fwd_len1512_dim1_sp_op_CI_CI.kd
    .uniform_work_group_size: 1
    .uses_dynamic_stack: false
    .vgpr_count:     510
    .vgpr_spill_count: 0
    .wavefront_size: 64
amdhsa.target:   amdgcn-amd-amdhsa--gfx950
amdhsa.version:
  - 1
  - 2
...

	.end_amdgpu_metadata
